;; amdgpu-corpus repo=ROCm/rocFFT kind=compiled arch=gfx1201 opt=O3
	.text
	.amdgcn_target "amdgcn-amd-amdhsa--gfx1201"
	.amdhsa_code_object_version 6
	.protected	fft_rtc_back_len2401_factors_7_7_7_7_wgs_49_tpt_49_halfLds_half_ip_CI_unitstride_sbrr_dirReg ; -- Begin function fft_rtc_back_len2401_factors_7_7_7_7_wgs_49_tpt_49_halfLds_half_ip_CI_unitstride_sbrr_dirReg
	.globl	fft_rtc_back_len2401_factors_7_7_7_7_wgs_49_tpt_49_halfLds_half_ip_CI_unitstride_sbrr_dirReg
	.p2align	8
	.type	fft_rtc_back_len2401_factors_7_7_7_7_wgs_49_tpt_49_halfLds_half_ip_CI_unitstride_sbrr_dirReg,@function
fft_rtc_back_len2401_factors_7_7_7_7_wgs_49_tpt_49_halfLds_half_ip_CI_unitstride_sbrr_dirReg: ; @fft_rtc_back_len2401_factors_7_7_7_7_wgs_49_tpt_49_halfLds_half_ip_CI_unitstride_sbrr_dirReg
; %bb.0:
	s_clause 0x2
	s_load_b128 s[4:7], s[0:1], 0x0
	s_load_b64 s[8:9], s[0:1], 0x50
	s_load_b64 s[10:11], s[0:1], 0x18
	v_mul_u32_u24_e32 v1, 0x53a, v0
	v_mov_b32_e32 v3, 0
	s_delay_alu instid0(VALU_DEP_2) | instskip(NEXT) | instid1(VALU_DEP_1)
	v_lshrrev_b32_e32 v1, 16, v1
	v_add_nc_u32_e32 v5, ttmp9, v1
	v_mov_b32_e32 v1, 0
	v_mov_b32_e32 v2, 0
	;; [unrolled: 1-line block ×3, first 2 shown]
	s_wait_kmcnt 0x0
	v_cmp_lt_u64_e64 s2, s[6:7], 2
	s_delay_alu instid0(VALU_DEP_1)
	s_and_b32 vcc_lo, exec_lo, s2
	s_cbranch_vccnz .LBB0_8
; %bb.1:
	s_load_b64 s[2:3], s[0:1], 0x10
	v_mov_b32_e32 v1, 0
	v_mov_b32_e32 v2, 0
	s_add_nc_u64 s[12:13], s[10:11], 8
	s_mov_b64 s[14:15], 1
	s_wait_kmcnt 0x0
	s_add_nc_u64 s[16:17], s[2:3], 8
	s_mov_b32 s3, 0
.LBB0_2:                                ; =>This Inner Loop Header: Depth=1
	s_load_b64 s[18:19], s[16:17], 0x0
                                        ; implicit-def: $vgpr7_vgpr8
	s_mov_b32 s2, exec_lo
	s_wait_kmcnt 0x0
	v_or_b32_e32 v4, s19, v6
	s_delay_alu instid0(VALU_DEP_1)
	v_cmpx_ne_u64_e32 0, v[3:4]
	s_wait_alu 0xfffe
	s_xor_b32 s20, exec_lo, s2
	s_cbranch_execz .LBB0_4
; %bb.3:                                ;   in Loop: Header=BB0_2 Depth=1
	s_cvt_f32_u32 s2, s18
	s_cvt_f32_u32 s21, s19
	s_sub_nc_u64 s[24:25], 0, s[18:19]
	s_wait_alu 0xfffe
	s_delay_alu instid0(SALU_CYCLE_1) | instskip(SKIP_1) | instid1(SALU_CYCLE_2)
	s_fmamk_f32 s2, s21, 0x4f800000, s2
	s_wait_alu 0xfffe
	v_s_rcp_f32 s2, s2
	s_delay_alu instid0(TRANS32_DEP_1) | instskip(SKIP_1) | instid1(SALU_CYCLE_2)
	s_mul_f32 s2, s2, 0x5f7ffffc
	s_wait_alu 0xfffe
	s_mul_f32 s21, s2, 0x2f800000
	s_wait_alu 0xfffe
	s_delay_alu instid0(SALU_CYCLE_2) | instskip(SKIP_1) | instid1(SALU_CYCLE_2)
	s_trunc_f32 s21, s21
	s_wait_alu 0xfffe
	s_fmamk_f32 s2, s21, 0xcf800000, s2
	s_cvt_u32_f32 s23, s21
	s_wait_alu 0xfffe
	s_delay_alu instid0(SALU_CYCLE_1) | instskip(SKIP_1) | instid1(SALU_CYCLE_2)
	s_cvt_u32_f32 s22, s2
	s_wait_alu 0xfffe
	s_mul_u64 s[26:27], s[24:25], s[22:23]
	s_wait_alu 0xfffe
	s_mul_hi_u32 s29, s22, s27
	s_mul_i32 s28, s22, s27
	s_mul_hi_u32 s2, s22, s26
	s_mul_i32 s30, s23, s26
	s_wait_alu 0xfffe
	s_add_nc_u64 s[28:29], s[2:3], s[28:29]
	s_mul_hi_u32 s21, s23, s26
	s_mul_hi_u32 s31, s23, s27
	s_add_co_u32 s2, s28, s30
	s_wait_alu 0xfffe
	s_add_co_ci_u32 s2, s29, s21
	s_mul_i32 s26, s23, s27
	s_add_co_ci_u32 s27, s31, 0
	s_wait_alu 0xfffe
	s_add_nc_u64 s[26:27], s[2:3], s[26:27]
	s_wait_alu 0xfffe
	v_add_co_u32 v4, s2, s22, s26
	s_delay_alu instid0(VALU_DEP_1) | instskip(SKIP_1) | instid1(VALU_DEP_1)
	s_cmp_lg_u32 s2, 0
	s_add_co_ci_u32 s23, s23, s27
	v_readfirstlane_b32 s22, v4
	s_wait_alu 0xfffe
	s_delay_alu instid0(VALU_DEP_1)
	s_mul_u64 s[24:25], s[24:25], s[22:23]
	s_wait_alu 0xfffe
	s_mul_hi_u32 s27, s22, s25
	s_mul_i32 s26, s22, s25
	s_mul_hi_u32 s2, s22, s24
	s_mul_i32 s28, s23, s24
	s_wait_alu 0xfffe
	s_add_nc_u64 s[26:27], s[2:3], s[26:27]
	s_mul_hi_u32 s21, s23, s24
	s_mul_hi_u32 s22, s23, s25
	s_wait_alu 0xfffe
	s_add_co_u32 s2, s26, s28
	s_add_co_ci_u32 s2, s27, s21
	s_mul_i32 s24, s23, s25
	s_add_co_ci_u32 s25, s22, 0
	s_wait_alu 0xfffe
	s_add_nc_u64 s[24:25], s[2:3], s[24:25]
	s_wait_alu 0xfffe
	v_add_co_u32 v4, s2, v4, s24
	s_delay_alu instid0(VALU_DEP_1) | instskip(SKIP_1) | instid1(VALU_DEP_1)
	s_cmp_lg_u32 s2, 0
	s_add_co_ci_u32 s2, s23, s25
	v_mul_hi_u32 v13, v5, v4
	s_wait_alu 0xfffe
	v_mad_co_u64_u32 v[7:8], null, v5, s2, 0
	v_mad_co_u64_u32 v[9:10], null, v6, v4, 0
	;; [unrolled: 1-line block ×3, first 2 shown]
	s_delay_alu instid0(VALU_DEP_3) | instskip(SKIP_1) | instid1(VALU_DEP_4)
	v_add_co_u32 v4, vcc_lo, v13, v7
	s_wait_alu 0xfffd
	v_add_co_ci_u32_e32 v7, vcc_lo, 0, v8, vcc_lo
	s_delay_alu instid0(VALU_DEP_2) | instskip(SKIP_1) | instid1(VALU_DEP_2)
	v_add_co_u32 v4, vcc_lo, v4, v9
	s_wait_alu 0xfffd
	v_add_co_ci_u32_e32 v4, vcc_lo, v7, v10, vcc_lo
	s_wait_alu 0xfffd
	v_add_co_ci_u32_e32 v7, vcc_lo, 0, v12, vcc_lo
	s_delay_alu instid0(VALU_DEP_2) | instskip(SKIP_1) | instid1(VALU_DEP_2)
	v_add_co_u32 v4, vcc_lo, v4, v11
	s_wait_alu 0xfffd
	v_add_co_ci_u32_e32 v9, vcc_lo, 0, v7, vcc_lo
	s_delay_alu instid0(VALU_DEP_2) | instskip(SKIP_1) | instid1(VALU_DEP_3)
	v_mul_lo_u32 v10, s19, v4
	v_mad_co_u64_u32 v[7:8], null, s18, v4, 0
	v_mul_lo_u32 v11, s18, v9
	s_delay_alu instid0(VALU_DEP_2) | instskip(NEXT) | instid1(VALU_DEP_2)
	v_sub_co_u32 v7, vcc_lo, v5, v7
	v_add3_u32 v8, v8, v11, v10
	s_delay_alu instid0(VALU_DEP_1) | instskip(SKIP_1) | instid1(VALU_DEP_1)
	v_sub_nc_u32_e32 v10, v6, v8
	s_wait_alu 0xfffd
	v_subrev_co_ci_u32_e64 v10, s2, s19, v10, vcc_lo
	v_add_co_u32 v11, s2, v4, 2
	s_wait_alu 0xf1ff
	v_add_co_ci_u32_e64 v12, s2, 0, v9, s2
	v_sub_co_u32 v13, s2, v7, s18
	v_sub_co_ci_u32_e32 v8, vcc_lo, v6, v8, vcc_lo
	s_wait_alu 0xf1ff
	v_subrev_co_ci_u32_e64 v10, s2, 0, v10, s2
	s_delay_alu instid0(VALU_DEP_3) | instskip(NEXT) | instid1(VALU_DEP_3)
	v_cmp_le_u32_e32 vcc_lo, s18, v13
	v_cmp_eq_u32_e64 s2, s19, v8
	s_wait_alu 0xfffd
	v_cndmask_b32_e64 v13, 0, -1, vcc_lo
	v_cmp_le_u32_e32 vcc_lo, s19, v10
	s_wait_alu 0xfffd
	v_cndmask_b32_e64 v14, 0, -1, vcc_lo
	v_cmp_le_u32_e32 vcc_lo, s18, v7
	;; [unrolled: 3-line block ×3, first 2 shown]
	s_wait_alu 0xfffd
	v_cndmask_b32_e64 v15, 0, -1, vcc_lo
	v_cmp_eq_u32_e32 vcc_lo, s19, v10
	s_wait_alu 0xf1ff
	s_delay_alu instid0(VALU_DEP_2)
	v_cndmask_b32_e64 v7, v15, v7, s2
	s_wait_alu 0xfffd
	v_cndmask_b32_e32 v10, v14, v13, vcc_lo
	v_add_co_u32 v13, vcc_lo, v4, 1
	s_wait_alu 0xfffd
	v_add_co_ci_u32_e32 v14, vcc_lo, 0, v9, vcc_lo
	s_delay_alu instid0(VALU_DEP_3) | instskip(SKIP_2) | instid1(VALU_DEP_3)
	v_cmp_ne_u32_e32 vcc_lo, 0, v10
	s_wait_alu 0xfffd
	v_cndmask_b32_e32 v10, v13, v11, vcc_lo
	v_cndmask_b32_e32 v8, v14, v12, vcc_lo
	v_cmp_ne_u32_e32 vcc_lo, 0, v7
	s_wait_alu 0xfffd
	s_delay_alu instid0(VALU_DEP_2)
	v_dual_cndmask_b32 v7, v4, v10 :: v_dual_cndmask_b32 v8, v9, v8
.LBB0_4:                                ;   in Loop: Header=BB0_2 Depth=1
	s_wait_alu 0xfffe
	s_and_not1_saveexec_b32 s2, s20
	s_cbranch_execz .LBB0_6
; %bb.5:                                ;   in Loop: Header=BB0_2 Depth=1
	v_cvt_f32_u32_e32 v4, s18
	s_sub_co_i32 s20, 0, s18
	s_delay_alu instid0(VALU_DEP_1) | instskip(NEXT) | instid1(TRANS32_DEP_1)
	v_rcp_iflag_f32_e32 v4, v4
	v_mul_f32_e32 v4, 0x4f7ffffe, v4
	s_delay_alu instid0(VALU_DEP_1) | instskip(SKIP_1) | instid1(VALU_DEP_1)
	v_cvt_u32_f32_e32 v4, v4
	s_wait_alu 0xfffe
	v_mul_lo_u32 v7, s20, v4
	s_delay_alu instid0(VALU_DEP_1) | instskip(NEXT) | instid1(VALU_DEP_1)
	v_mul_hi_u32 v7, v4, v7
	v_add_nc_u32_e32 v4, v4, v7
	s_delay_alu instid0(VALU_DEP_1) | instskip(NEXT) | instid1(VALU_DEP_1)
	v_mul_hi_u32 v4, v5, v4
	v_mul_lo_u32 v7, v4, s18
	v_add_nc_u32_e32 v8, 1, v4
	s_delay_alu instid0(VALU_DEP_2) | instskip(NEXT) | instid1(VALU_DEP_1)
	v_sub_nc_u32_e32 v7, v5, v7
	v_subrev_nc_u32_e32 v9, s18, v7
	v_cmp_le_u32_e32 vcc_lo, s18, v7
	s_wait_alu 0xfffd
	s_delay_alu instid0(VALU_DEP_2) | instskip(NEXT) | instid1(VALU_DEP_1)
	v_dual_cndmask_b32 v7, v7, v9 :: v_dual_cndmask_b32 v4, v4, v8
	v_cmp_le_u32_e32 vcc_lo, s18, v7
	s_delay_alu instid0(VALU_DEP_2) | instskip(SKIP_1) | instid1(VALU_DEP_1)
	v_add_nc_u32_e32 v8, 1, v4
	s_wait_alu 0xfffd
	v_dual_cndmask_b32 v7, v4, v8 :: v_dual_mov_b32 v8, v3
.LBB0_6:                                ;   in Loop: Header=BB0_2 Depth=1
	s_wait_alu 0xfffe
	s_or_b32 exec_lo, exec_lo, s2
	s_load_b64 s[20:21], s[12:13], 0x0
	s_delay_alu instid0(VALU_DEP_1)
	v_mul_lo_u32 v4, v8, s18
	v_mul_lo_u32 v11, v7, s19
	v_mad_co_u64_u32 v[9:10], null, v7, s18, 0
	s_add_nc_u64 s[14:15], s[14:15], 1
	s_add_nc_u64 s[12:13], s[12:13], 8
	s_wait_alu 0xfffe
	v_cmp_ge_u64_e64 s2, s[14:15], s[6:7]
	s_add_nc_u64 s[16:17], s[16:17], 8
	s_delay_alu instid0(VALU_DEP_2) | instskip(NEXT) | instid1(VALU_DEP_3)
	v_add3_u32 v4, v10, v11, v4
	v_sub_co_u32 v5, vcc_lo, v5, v9
	s_wait_alu 0xfffd
	s_delay_alu instid0(VALU_DEP_2) | instskip(SKIP_3) | instid1(VALU_DEP_2)
	v_sub_co_ci_u32_e32 v4, vcc_lo, v6, v4, vcc_lo
	s_and_b32 vcc_lo, exec_lo, s2
	s_wait_kmcnt 0x0
	v_mul_lo_u32 v6, s21, v5
	v_mul_lo_u32 v4, s20, v4
	v_mad_co_u64_u32 v[1:2], null, s20, v5, v[1:2]
	s_delay_alu instid0(VALU_DEP_1)
	v_add3_u32 v2, v6, v2, v4
	s_wait_alu 0xfffe
	s_cbranch_vccnz .LBB0_9
; %bb.7:                                ;   in Loop: Header=BB0_2 Depth=1
	v_dual_mov_b32 v5, v7 :: v_dual_mov_b32 v6, v8
	s_branch .LBB0_2
.LBB0_8:
	v_dual_mov_b32 v8, v6 :: v_dual_mov_b32 v7, v5
.LBB0_9:
	s_lshl_b64 s[2:3], s[6:7], 3
	v_mul_hi_u32 v10, 0x539782a, v0
	s_wait_alu 0xfffe
	s_add_nc_u64 s[2:3], s[10:11], s[2:3]
	v_dual_mov_b32 v33, 0 :: v_dual_mov_b32 v20, 0
	s_load_b64 s[2:3], s[2:3], 0x0
	s_load_b64 s[0:1], s[0:1], 0x20
	v_dual_mov_b32 v65, 0 :: v_dual_mov_b32 v54, 0
	v_dual_mov_b32 v17, 0 :: v_dual_mov_b32 v12, 0
	v_mul_u32_u24_e32 v10, 49, v10
	v_dual_mov_b32 v18, 0 :: v_dual_mov_b32 v9, 0
	v_dual_mov_b32 v15, 0 :: v_dual_mov_b32 v6, 0
	;; [unrolled: 1-line block ×7, first 2 shown]
	s_wait_kmcnt 0x0
	v_mul_lo_u32 v11, s2, v8
	v_mul_lo_u32 v13, s3, v7
	v_mad_co_u64_u32 v[1:2], null, s2, v7, v[1:2]
	v_cmp_gt_u64_e32 vcc_lo, s[0:1], v[7:8]
	v_dual_mov_b32 v59, 0 :: v_dual_mov_b32 v56, 0
	v_dual_mov_b32 v55, 0 :: v_dual_mov_b32 v58, 0
	v_sub_nc_u32_e32 v28, v0, v10
	v_add3_u32 v2, v13, v2, v11
	v_dual_mov_b32 v29, 0 :: v_dual_mov_b32 v0, 0
                                        ; implicit-def: $vgpr27
                                        ; implicit-def: $vgpr32
                                        ; implicit-def: $vgpr22
                                        ; implicit-def: $vgpr34
                                        ; implicit-def: $vgpr23
                                        ; implicit-def: $vgpr35
                                        ; implicit-def: $vgpr25
                                        ; implicit-def: $vgpr36
                                        ; implicit-def: $vgpr26
                                        ; implicit-def: $vgpr37
                                        ; implicit-def: $vgpr45
                                        ; implicit-def: $vgpr47
                                        ; implicit-def: $vgpr41
                                        ; implicit-def: $vgpr42
                                        ; implicit-def: $vgpr43
                                        ; implicit-def: $vgpr44
                                        ; implicit-def: $vgpr67
                                        ; implicit-def: $vgpr66
                                        ; implicit-def: $vgpr38
                                        ; implicit-def: $vgpr39
                                        ; implicit-def: $vgpr21
                                        ; implicit-def: $vgpr24
                                        ; implicit-def: $vgpr13
                                        ; implicit-def: $vgpr14
                                        ; implicit-def: $vgpr10
                                        ; implicit-def: $vgpr11
                                        ; implicit-def: $vgpr7
                                        ; implicit-def: $vgpr8
	s_delay_alu instid0(VALU_DEP_2)
	v_lshlrev_b64_e32 v[30:31], 2, v[1:2]
	v_dual_mov_b32 v1, 0 :: v_dual_mov_b32 v2, 0
	s_and_saveexec_b32 s1, vcc_lo
	s_cbranch_execz .LBB0_11
; %bb.10:
	v_mov_b32_e32 v29, 0
	s_delay_alu instid0(VALU_DEP_3) | instskip(SKIP_2) | instid1(VALU_DEP_3)
	v_add_co_u32 v2, s0, s8, v30
	s_wait_alu 0xf1ff
	v_add_co_ci_u32_e64 v3, s0, s9, v31, s0
	v_lshlrev_b64_e32 v[0:1], 2, v[28:29]
	s_delay_alu instid0(VALU_DEP_1) | instskip(SKIP_1) | instid1(VALU_DEP_2)
	v_add_co_u32 v7, s0, v2, v0
	s_wait_alu 0xf1ff
	v_add_co_ci_u32_e64 v8, s0, v3, v1, s0
	s_clause 0x1f
	global_load_b32 v57, v[7:8], off offset:2940
	global_load_b32 v10, v[7:8], off offset:4116
	;; [unrolled: 1-line block ×12, first 2 shown]
	global_load_b32 v20, v[7:8], off
	global_load_b32 v54, v[7:8], off offset:196
	global_load_b32 v12, v[7:8], off offset:392
	;; [unrolled: 1-line block ×19, first 2 shown]
	s_clause 0x10
	global_load_b32 v55, v[7:8], off offset:3332
	global_load_b32 v58, v[7:8], off offset:3528
	;; [unrolled: 1-line block ×17, first 2 shown]
	s_wait_loadcnt 0x29
	v_lshrrev_b32_e32 v42, 16, v14
	s_wait_loadcnt 0x28
	v_lshrrev_b32_e32 v47, 16, v21
	;; [unrolled: 2-line block ×5, first 2 shown]
	v_perm_b32 v43, v14, v10, 0x5040100
	v_perm_b32 v67, v21, v11, 0x5040100
	;; [unrolled: 1-line block ×3, first 2 shown]
	s_wait_loadcnt 0x1e
	v_lshrrev_b32_e32 v34, 16, v50
	s_wait_loadcnt 0x1d
	v_perm_b32 v66, v45, v11, 0x7060302
	s_wait_loadcnt 0x1c
	v_perm_b32 v39, v26, v13, 0x7060302
	;; [unrolled: 2-line block ×3, first 2 shown]
	s_wait_loadcnt 0x17
	v_lshrrev_b32_e32 v32, 16, v51
	s_wait_loadcnt 0xd
	v_perm_b32 v21, v48, v52, 0x5040100
	v_perm_b32 v24, v25, v52, 0x7060302
	s_wait_loadcnt 0xc
	v_perm_b32 v13, v49, v60, 0x5040100
	v_perm_b32 v14, v23, v60, 0x7060302
	;; [unrolled: 3-line block ×3, first 2 shown]
	s_wait_loadcnt 0x7
	v_perm_b32 v7, v51, v62, 0x5040100
	s_wait_loadcnt 0x6
	v_perm_b32 v8, v27, v62, 0x7060302
.LBB0_11:
	s_wait_alu 0xfffe
	s_or_b32 exec_lo, exec_lo, s1
	s_wait_loadcnt 0x3
	v_lshrrev_b32_e32 v49, 16, v46
	v_perm_b32 v50, v46, v5, 0x5040100
	v_perm_b32 v52, v33, v5, 0x7060302
	v_add_f16_e32 v51, v41, v33
	v_lshrrev_b32_e32 v48, 16, v57
	v_sub_f16_e32 v60, v49, v42
	v_pk_add_f16 v61, v43, v50
	v_pk_add_f16 v63, v52, v44 neg_lo:[0,1] neg_hi:[0,1]
	v_perm_b32 v57, v57, v64, 0x5040100
	v_add_f16_e32 v71, v45, v65
	v_sub_f16_e32 v72, v65, v45
	v_lshrrev_b32_e32 v5, 16, v61
	v_alignbit_b32 v68, v51, v61, 16
	v_pack_b32_f16 v69, v60, v63
	v_add_f16_e32 v70, v60, v63
	v_lshrrev_b32_e32 v82, 16, v63
	v_add_f16_e32 v5, v51, v5
	v_sub_f16_e32 v51, v51, v61
	v_pk_add_f16 v68, v61, v68 neg_lo:[0,1] neg_hi:[0,1]
	v_pk_add_f16 v63, v63, v69 neg_lo:[0,1] neg_hi:[0,1]
	v_sub_f16_e32 v60, v60, v82
	v_add_f16_e32 v5, v5, v61
	v_mul_f16_e32 v69, 0xba52, v51
	v_pk_mul_f16 v61, 0x39e02b26, v68
	v_pk_mul_f16 v83, 0xb5743846, v63
	v_add_f16_e32 v70, v82, v70
	v_add_f16_e32 v82, v5, v20
	v_mul_f16_e32 v60, 0xbb00, v60
	v_alignbit_b32 v69, v69, v61, 16
	v_lshrrev_b32_e32 v85, 16, v83
	v_mul_f16_e32 v84, 0xb70e, v70
	v_fmamk_f16 v5, v5, 0xbcab, v82
	v_pk_fma_f16 v60, 0xb5743846, v63, v60 op_sel_hi:[1,1,0] neg_lo:[0,1,0] neg_hi:[0,1,1]
	v_pk_fma_f16 v68, 0x39e02b26, v68, v69 neg_lo:[0,1,0] neg_hi:[0,1,0]
	v_fmamk_f16 v69, v51, 0x3a52, v61
	v_add_f16_e32 v83, v85, v83
	v_perm_b32 v64, v65, v64, 0x7060302
	v_pk_add_f16 v60, v60, v84 op_sel_hi:[1,0]
	v_pk_add_f16 v68, v68, v5 op_sel_hi:[1,0]
	v_add_f16_e32 v84, v69, v5
	v_fmac_f16_e32 v83, 0xb70e, v70
	v_pk_add_f16 v65, v67, v57
	v_mad_u32_u24 v5, v28, 14, 0
	v_pk_add_f16 v69, v68, v60
	v_pk_add_f16 v68, v68, v60 neg_lo:[0,1] neg_hi:[0,1]
	v_add_f16_e32 v85, v84, v83
	v_pk_add_f16 v57, v57, v67 neg_lo:[0,1] neg_hi:[0,1]
	v_lshrrev_b32_e32 v67, 16, v65
	v_add_f16_e32 v73, v47, v48
	v_bfi_b32 v70, 0xffff, v69, v68
	v_alignbit_b32 v69, v68, v69, 16
	v_pack_b32_f16 v68, v82, v85
	v_sub_f16_e32 v82, v84, v83
	v_pk_add_f16 v83, v66, v64
	v_sub_f16_e32 v74, v48, v47
	ds_store_b96 v5, v[68:70]
	ds_store_b16 v5, v82 offset:12
	v_lshrrev_b32_e32 v69, 16, v57
	v_lshrrev_b32_e32 v68, 16, v83
	v_pk_add_f16 v64, v64, v66 neg_lo:[0,1] neg_hi:[0,1]
	v_add_f16_e32 v66, v71, v67
	v_alignbit_b32 v67, v71, v65, 16
	v_sub_f16_e32 v71, v71, v65
	v_add_f16_e32 v70, v68, v73
	v_add_f16_e32 v84, v69, v57
	v_pack_b32_f16 v85, v74, v64
	v_pk_add_f16 v67, v65, v67 neg_lo:[0,1] neg_hi:[0,1]
	v_sub_f16_e32 v87, v57, v69
	v_sub_f16_e32 v88, v72, v57
	v_lshrrev_b32_e32 v57, 16, v64
	v_add_f16_e32 v65, v66, v65
	v_lshrrev_b32_e32 v75, 16, v54
	v_sub_f16_e32 v82, v73, v68
	v_sub_f16_e32 v68, v68, v83
	;; [unrolled: 1-line block ×3, first 2 shown]
	v_add_f16_e32 v86, v74, v64
	v_pk_add_f16 v64, v64, v85 neg_lo:[0,1] neg_hi:[0,1]
	v_sub_f16_e32 v69, v69, v72
	v_add_f16_e32 v66, v70, v83
	v_sub_f16_e32 v70, v74, v57
	v_add_f16_e32 v72, v72, v84
	v_add_f16_e32 v83, v65, v54
	v_mul_f16_e32 v54, 0xba52, v71
	v_pk_mul_f16 v84, 0x39e02b26, v67
	v_pk_add_f16 v44, v44, v52
	v_add_f16_e32 v74, v57, v86
	v_mul_f16_e32 v86, 0x3846, v87
	v_pk_mul_f16 v87, 0xb5743846, v64
	v_mul_f16_e32 v70, 0xbb00, v70
	v_alignbit_b32 v54, v54, v84, 16
	v_add_f16_e32 v42, v42, v49
	v_lshrrev_b32_e32 v49, 16, v44
	v_pk_add_f16 v43, v50, v43 neg_lo:[0,1] neg_hi:[0,1]
	v_add_f16_e32 v57, v66, v75
	v_mul_f16_e32 v75, 0x3a52, v68
	v_mul_f16_e32 v73, 0x2b26, v73
	v_mul_f16_e32 v85, 0xb70e, v74
	v_mul_f16_e32 v89, 0xbb00, v69
	v_fmamk_f16 v65, v65, 0xbcab, v83
	v_fmamk_f16 v71, v71, 0x3a52, v84
	v_lshrrev_b32_e32 v84, 16, v87
	v_pk_fma_f16 v54, 0x39e02b26, v67, v54 neg_lo:[0,1,0] neg_hi:[0,1,0]
	v_pk_fma_f16 v64, 0xb5743846, v64, v70 op_sel_hi:[1,1,0] neg_lo:[0,1,0] neg_hi:[0,1,1]
	v_add_f16_e32 v52, v49, v42
	v_sub_f16_e32 v33, v33, v41
	v_lshrrev_b32_e32 v50, 16, v43
	v_lshrrev_b32_e32 v45, 16, v53
	v_fmamk_f16 v66, v66, 0xbcab, v57
	v_fmamk_f16 v68, v68, 0x3a52, v73
	v_fma_f16 v73, v82, 0x39e0, -v73
	v_fma_f16 v67, v82, 0xb9e0, -v75
	v_fmamk_f16 v75, v88, 0xb574, v86
	v_add_f16_e32 v82, v84, v87
	v_fma_f16 v69, v69, 0xbb00, -v86
	v_fma_f16 v84, v88, 0x3574, -v89
	v_pk_add_f16 v54, v54, v65 op_sel_hi:[1,0]
	v_pk_add_f16 v64, v64, v85 op_sel_hi:[1,0]
	v_perm_b32 v53, v53, v40, 0x5040100
	v_add_f16_e32 v41, v52, v44
	v_lshrrev_b32_e32 v20, 16, v20
	v_sub_f16_e32 v52, v42, v49
	v_sub_f16_e32 v49, v49, v44
	;; [unrolled: 1-line block ×3, first 2 shown]
	v_add_f16_e32 v44, v50, v43
	v_sub_f16_e32 v112, v50, v33
	v_sub_f16_e32 v50, v43, v50
	v_add_f16_e32 v71, v71, v65
	v_add_f16_e32 v86, v68, v66
	;; [unrolled: 1-line block ×4, first 2 shown]
	v_fmac_f16_e32 v82, 0xb70e, v74
	v_fmac_f16_e32 v75, 0xb70e, v72
	;; [unrolled: 1-line block ×4, first 2 shown]
	v_pk_add_f16 v72, v54, v64
	v_pk_add_f16 v64, v54, v64 neg_lo:[0,1] neg_hi:[0,1]
	v_pk_add_f16 v85, v38, v53
	v_perm_b32 v54, v17, v40, 0x7060302
	v_add_f16_e32 v20, v41, v20
	v_mul_f16_e32 v113, 0x3a52, v49
	v_sub_f16_e32 v43, v33, v43
	v_mul_f16_e32 v114, 0xbb00, v112
	v_mul_f16_e32 v42, 0x2b26, v42
	;; [unrolled: 1-line block ×3, first 2 shown]
	v_add_f16_e32 v76, v26, v17
	v_sub_f16_e32 v77, v45, v37
	v_add_f16_e32 v74, v71, v82
	v_sub_f16_e32 v66, v86, v75
	v_sub_f16_e32 v67, v65, v84
	v_add_f16_e32 v68, v69, v70
	v_sub_f16_e32 v69, v70, v69
	v_add_f16_e32 v70, v84, v65
	;; [unrolled: 2-line block ×3, first 2 shown]
	v_lshrrev_b32_e32 v71, 16, v85
	v_pk_add_f16 v75, v54, v39 neg_lo:[0,1] neg_hi:[0,1]
	v_fmamk_f16 v41, v41, 0xbcab, v20
	v_fma_f16 v113, v52, 0xb9e0, -v113
	v_add_f16_e32 v33, v33, v44
	v_fma_f16 v44, v43, 0x3574, -v114
	v_fma_f16 v52, v52, 0x39e0, -v42
	;; [unrolled: 1-line block ×3, first 2 shown]
	v_fmamk_f16 v42, v49, 0x3a52, v42
	v_fmamk_f16 v49, v43, 0xb574, v50
	v_bfi_b32 v73, 0xffff, v72, v64
	v_alignbit_b32 v82, v76, v85, 16
	v_alignbit_b32 v72, v64, v72, 16
	v_add_f16_e32 v64, v76, v71
	v_pack_b32_f16 v71, v77, v75
	v_add_f16_e32 v113, v113, v41
	v_fmac_f16_e32 v44, 0xb70e, v33
	v_add_f16_e32 v43, v52, v41
	v_fmac_f16_e32 v112, 0xb70e, v33
	;; [unrolled: 2-line block ×3, first 2 shown]
	v_lshrrev_b32_e32 v48, 16, v29
	v_sub_f16_e32 v76, v76, v85
	v_pk_add_f16 v82, v85, v82 neg_lo:[0,1] neg_hi:[0,1]
	v_lshrrev_b32_e32 v86, 16, v75
	v_pk_add_f16 v71, v75, v71 neg_lo:[0,1] neg_hi:[0,1]
	v_sub_f16_e32 v33, v113, v44
	v_add_f16_e32 v41, v44, v113
	v_sub_f16_e32 v42, v43, v112
	v_add_f16_e32 v44, v112, v43
	v_sub_f16_e32 v52, v50, v49
	v_sub_f16_e32 v17, v17, v26
	v_pk_add_f16 v26, v39, v54
	v_lshrrev_b32_e32 v47, 16, v55
	v_lshrrev_b32_e32 v46, 16, v58
	v_add_f16_e32 v62, v22, v16
	v_sub_f16_e32 v63, v48, v34
	v_add_f16_e32 v84, v77, v75
	v_add_f16_e32 v64, v64, v85
	v_mul_f16_e32 v75, 0xba52, v76
	v_pk_mul_f16 v85, 0x39e02b26, v82
	v_sub_f16_e32 v77, v77, v86
	v_pk_mul_f16 v87, 0xb5743846, v71
	v_perm_b32 v109, v16, v2, 0x7060302
	v_pack_b32_f16 v43, v42, v41
	v_pack_b32_f16 v42, v33, v44
	;; [unrolled: 1-line block ×3, first 2 shown]
	v_add_f16_e32 v20, v37, v45
	v_sub_f16_e32 v16, v16, v22
	v_add_f16_e32 v22, v34, v48
	v_lshrrev_b32_e32 v33, 16, v26
	v_pk_add_f16 v34, v53, v38 neg_lo:[0,1] neg_hi:[0,1]
	v_add_f16_e32 v78, v25, v18
	v_sub_f16_e32 v79, v47, v36
	v_add_f16_e32 v80, v23, v15
	v_sub_f16_e32 v81, v46, v35
	v_add_f16_e32 v84, v86, v84
	v_add_f16_e32 v86, v64, v12
	v_alignbit_b32 v75, v75, v85, 16
	v_mul_f16_e32 v77, 0xbb00, v77
	v_lshrrev_b32_e32 v89, 16, v87
	v_perm_b32 v105, v18, v59, 0x7060302
	v_perm_b32 v107, v15, v56, 0x7060302
	v_sub_f16_e32 v18, v18, v25
	v_add_f16_e32 v25, v36, v47
	v_sub_f16_e32 v15, v15, v23
	v_add_f16_e32 v23, v35, v46
	v_add_f16_e32 v35, v33, v20
	v_lshrrev_b32_e32 v36, 16, v34
	v_mul_f16_e32 v88, 0xb70e, v84
	v_fmamk_f16 v64, v64, 0xbcab, v86
	v_pk_fma_f16 v75, 0x39e02b26, v82, v75 neg_lo:[0,1,0] neg_hi:[0,1,0]
	v_pk_fma_f16 v77, 0xb5743846, v71, v77 op_sel_hi:[1,1,0] neg_lo:[0,1,0] neg_hi:[0,1,1]
	v_pack_b32_f16 v71, v83, v74
	v_fmamk_f16 v74, v76, 0x3a52, v85
	v_add_f16_e32 v76, v89, v87
	v_perm_b32 v55, v55, v59, 0x5040100
	v_sub_f16_e32 v37, v20, v33
	v_sub_f16_e32 v33, v33, v26
	;; [unrolled: 1-line block ×3, first 2 shown]
	v_add_f16_e32 v26, v35, v26
	v_sub_f16_e32 v38, v34, v36
	v_lshrrev_b32_e32 v12, 16, v12
	v_pk_add_f16 v75, v75, v64 op_sel_hi:[1,0]
	v_pk_add_f16 v77, v77, v88 op_sel_hi:[1,0]
	ds_store_b96 v5, v[71:73] offset:686
	ds_store_b16 v5, v65 offset:698
	v_add_f16_e32 v64, v74, v64
	v_fmac_f16_e32 v76, 0xb70e, v84
	v_pk_add_f16 v71, v21, v55
	v_add_f16_e32 v35, v36, v34
	v_mul_f16_e32 v20, 0x2b26, v20
	v_sub_f16_e32 v36, v36, v17
	v_add_f16_e32 v12, v26, v12
	v_mul_f16_e32 v38, 0x3846, v38
	v_pk_add_f16 v65, v75, v77
	v_pk_add_f16 v59, v75, v77 neg_lo:[0,1] neg_hi:[0,1]
	v_add_f16_e32 v74, v64, v76
	v_sub_f16_e32 v64, v64, v76
	v_lshrrev_b32_e32 v75, 16, v71
	v_pk_add_f16 v76, v105, v24 neg_lo:[0,1] neg_hi:[0,1]
	v_alignbit_b32 v77, v78, v71, 16
	v_sub_f16_e32 v34, v17, v34
	v_add_f16_e32 v17, v17, v35
	v_mul_f16_e32 v35, 0x3a52, v33
	v_fmamk_f16 v33, v33, 0x3a52, v20
	v_fma_f16 v20, v37, 0x39e0, -v20
	v_mul_f16_e32 v39, 0xbb00, v36
	v_fmamk_f16 v26, v26, 0xbcab, v12
	v_fma_f16 v36, v36, 0xbb00, -v38
	v_bfi_b32 v73, 0xffff, v65, v59
	v_alignbit_b32 v72, v59, v65, 16
	v_add_f16_e32 v59, v78, v75
	v_pack_b32_f16 v65, v79, v76
	v_sub_f16_e32 v75, v78, v71
	v_pk_add_f16 v77, v71, v77 neg_lo:[0,1] neg_hi:[0,1]
	v_lshrrev_b32_e32 v82, 16, v76
	v_fma_f16 v35, v37, 0xb9e0, -v35
	v_fmamk_f16 v37, v34, 0xb574, v38
	v_fma_f16 v34, v34, 0x3574, -v39
	v_add_f16_e32 v20, v20, v26
	v_fmac_f16_e32 v36, 0xb70e, v17
	v_pk_add_f16 v24, v24, v105
	v_add_f16_e32 v78, v79, v76
	v_pk_add_f16 v65, v76, v65 neg_lo:[0,1] neg_hi:[0,1]
	v_add_f16_e32 v59, v59, v71
	v_mul_f16_e32 v71, 0xba52, v75
	v_pk_mul_f16 v76, 0x39e02b26, v77
	v_sub_f16_e32 v79, v79, v82
	v_add_f16_e32 v33, v33, v26
	v_add_f16_e32 v26, v35, v26
	v_fmac_f16_e32 v34, 0xb70e, v17
	v_fmac_f16_e32 v37, 0xb70e, v17
	v_add_f16_e32 v17, v36, v20
	v_sub_f16_e32 v20, v20, v36
	v_lshrrev_b32_e32 v36, 16, v24
	v_pk_add_f16 v21, v55, v21 neg_lo:[0,1] neg_hi:[0,1]
	v_add_f16_e32 v78, v82, v78
	v_add_f16_e32 v82, v59, v9
	v_pk_mul_f16 v83, 0xb5743846, v65
	v_alignbit_b32 v71, v71, v76, 16
	v_mul_f16_e32 v79, 0xbb00, v79
	v_sub_f16_e32 v35, v26, v34
	v_add_f16_e32 v26, v34, v26
	v_sub_f16_e32 v34, v33, v37
	v_add_f16_e32 v33, v37, v33
	v_add_f16_e32 v37, v36, v25
	v_lshrrev_b32_e32 v38, 16, v21
	v_mul_f16_e32 v84, 0xb70e, v78
	v_fmamk_f16 v59, v59, 0xbcab, v82
	v_lshrrev_b32_e32 v85, 16, v83
	v_pk_fma_f16 v77, 0x39e02b26, v77, v71 neg_lo:[0,1,0] neg_hi:[0,1,0]
	v_pk_fma_f16 v65, 0xb5743846, v65, v79 op_sel_hi:[1,1,0] neg_lo:[0,1,0] neg_hi:[0,1,1]
	v_sub_f16_e32 v39, v25, v36
	v_sub_f16_e32 v36, v36, v24
	;; [unrolled: 1-line block ×3, first 2 shown]
	v_add_f16_e32 v24, v37, v24
	v_sub_f16_e32 v44, v21, v38
	v_lshrrev_b32_e32 v9, 16, v9
	v_pack_b32_f16 v71, v86, v74
	v_fmamk_f16 v74, v75, 0x3a52, v76
	v_add_f16_e32 v75, v85, v83
	v_pk_add_f16 v76, v77, v59 op_sel_hi:[1,0]
	v_pk_add_f16 v65, v65, v84 op_sel_hi:[1,0]
	v_perm_b32 v106, v58, v56, 0x5040100
	v_add_f16_e32 v37, v38, v21
	v_mul_f16_e32 v25, 0x2b26, v25
	v_sub_f16_e32 v38, v38, v18
	v_add_f16_e32 v9, v24, v9
	v_mul_f16_e32 v44, 0x3846, v44
	ds_store_b96 v5, v[71:73] offset:1372
	ds_store_b16 v5, v64 offset:1384
	v_add_f16_e32 v58, v74, v59
	v_fmac_f16_e32 v75, 0xb70e, v78
	v_pk_add_f16 v59, v76, v65
	v_pk_add_f16 v64, v13, v106
	v_pk_add_f16 v56, v76, v65 neg_lo:[0,1] neg_hi:[0,1]
	v_pk_add_f16 v74, v107, v14 neg_lo:[0,1] neg_hi:[0,1]
	v_sub_f16_e32 v21, v18, v21
	v_add_f16_e32 v18, v18, v37
	v_mul_f16_e32 v37, 0x3a52, v36
	v_fmamk_f16 v36, v36, 0x3a52, v25
	v_fma_f16 v25, v39, 0x39e0, -v25
	v_mul_f16_e32 v45, 0xbb00, v38
	v_fmamk_f16 v24, v24, 0xbcab, v9
	v_fma_f16 v38, v38, 0xbb00, -v44
	v_add_f16_e32 v65, v58, v75
	v_sub_f16_e32 v58, v58, v75
	v_lshrrev_b32_e32 v71, 16, v64
	v_bfi_b32 v73, 0xffff, v59, v56
	v_alignbit_b32 v75, v80, v64, 16
	v_alignbit_b32 v72, v56, v59, 16
	v_pack_b32_f16 v59, v81, v74
	v_fma_f16 v37, v39, 0xb9e0, -v37
	v_fmamk_f16 v39, v21, 0xb574, v44
	v_fma_f16 v21, v21, 0x3574, -v45
	v_add_f16_e32 v25, v25, v24
	v_fmac_f16_e32 v38, 0xb70e, v18
	v_pk_add_f16 v14, v14, v107
	v_add_f16_e32 v56, v80, v71
	v_sub_f16_e32 v76, v80, v64
	v_pk_add_f16 v71, v64, v75 neg_lo:[0,1] neg_hi:[0,1]
	v_lshrrev_b32_e32 v77, 16, v74
	v_pk_add_f16 v59, v74, v59 neg_lo:[0,1] neg_hi:[0,1]
	v_add_f16_e32 v36, v36, v24
	v_add_f16_e32 v24, v37, v24
	v_fmac_f16_e32 v21, 0xb70e, v18
	v_fmac_f16_e32 v39, 0xb70e, v18
	v_add_f16_e32 v18, v38, v25
	v_sub_f16_e32 v25, v25, v38
	v_lshrrev_b32_e32 v38, 16, v14
	v_pk_add_f16 v13, v106, v13 neg_lo:[0,1] neg_hi:[0,1]
	v_add_f16_e32 v75, v81, v74
	v_add_f16_e32 v56, v56, v64
	v_mul_f16_e32 v64, 0xba52, v76
	v_pk_mul_f16 v74, 0x39e02b26, v71
	v_sub_f16_e32 v78, v81, v77
	v_pk_mul_f16 v79, 0xb5743846, v59
	v_sub_f16_e32 v37, v24, v21
	v_add_f16_e32 v21, v21, v24
	v_sub_f16_e32 v24, v36, v39
	v_add_f16_e32 v36, v39, v36
	v_add_f16_e32 v39, v38, v23
	v_lshrrev_b32_e32 v44, 16, v13
	v_sub_f16_e32 v45, v23, v38
	v_sub_f16_e32 v23, v14, v23
	v_add_f16_e32 v75, v77, v75
	v_add_f16_e32 v77, v56, v6
	v_alignbit_b32 v64, v64, v74, 16
	v_mul_f16_e32 v78, 0xbb00, v78
	v_lshrrev_b32_e32 v81, 16, v79
	v_sub_f16_e32 v38, v38, v14
	v_add_f16_e32 v14, v39, v14
	v_add_f16_e32 v39, v44, v13
	v_sub_f16_e32 v46, v13, v44
	v_lshrrev_b32_e32 v6, 16, v6
	v_mul_f16_e32 v23, 0x2b26, v23
	v_mul_f16_e32 v80, 0xb70e, v75
	v_fmamk_f16 v56, v56, 0xbcab, v77
	v_pk_fma_f16 v64, 0x39e02b26, v71, v64 neg_lo:[0,1,0] neg_hi:[0,1,0]
	v_pk_fma_f16 v59, 0xb5743846, v59, v78 op_sel_hi:[1,1,0] neg_lo:[0,1,0] neg_hi:[0,1,1]
	v_pack_b32_f16 v71, v82, v65
	v_fmamk_f16 v65, v76, 0x3a52, v74
	v_add_f16_e32 v74, v81, v79
	v_perm_b32 v108, v29, v2, 0x5040100
	v_sub_f16_e32 v13, v15, v13
	v_sub_f16_e32 v44, v44, v15
	v_add_f16_e32 v15, v15, v39
	v_mul_f16_e32 v39, 0x3a52, v38
	v_add_f16_e32 v47, v14, v6
	v_fmamk_f16 v6, v38, 0x3a52, v23
	v_mul_f16_e32 v38, 0x3846, v46
	v_pk_add_f16 v64, v64, v56 op_sel_hi:[1,0]
	v_pk_add_f16 v59, v59, v80 op_sel_hi:[1,0]
	ds_store_b96 v5, v[71:73] offset:2058
	ds_store_b16 v5, v58 offset:2070
	v_add_f16_e32 v29, v65, v56
	v_fmac_f16_e32 v74, 0xb70e, v75
	v_pk_add_f16 v58, v10, v108
	v_fma_f16 v23, v45, 0x39e0, -v23
	v_mul_f16_e32 v46, 0xbb00, v44
	v_fmamk_f16 v14, v14, 0xbcab, v47
	v_fma_f16 v44, v44, 0xbb00, -v38
	v_pk_add_f16 v56, v64, v59
	v_pk_add_f16 v59, v64, v59 neg_lo:[0,1] neg_hi:[0,1]
	v_add_f16_e32 v2, v29, v74
	v_lshrrev_b32_e32 v64, 16, v58
	v_pk_add_f16 v65, v109, v11 neg_lo:[0,1] neg_hi:[0,1]
	v_fma_f16 v39, v45, 0xb9e0, -v39
	v_fmamk_f16 v38, v13, 0xb574, v38
	v_fma_f16 v13, v13, 0x3574, -v46
	v_add_f16_e32 v23, v23, v14
	v_fmac_f16_e32 v44, 0xb70e, v15
	v_pk_add_f16 v11, v11, v109
	v_bfi_b32 v73, 0xffff, v56, v59
	v_alignbit_b32 v72, v59, v56, 16
	v_pack_b32_f16 v71, v77, v2
	v_add_f16_e32 v2, v62, v64
	v_alignbit_b32 v56, v62, v58, 16
	v_add_f16_e32 v6, v6, v14
	v_add_f16_e32 v14, v39, v14
	v_fmac_f16_e32 v13, 0xb70e, v15
	v_fmac_f16_e32 v38, 0xb70e, v15
	v_add_f16_e32 v15, v44, v23
	v_sub_f16_e32 v23, v23, v44
	v_lshrrev_b32_e32 v44, 16, v11
	v_pk_add_f16 v10, v108, v10 neg_lo:[0,1] neg_hi:[0,1]
	v_sub_f16_e32 v29, v29, v74
	v_pack_b32_f16 v59, v63, v65
	v_sub_f16_e32 v62, v62, v58
	v_lshrrev_b32_e32 v64, 16, v65
	v_add_f16_e32 v74, v63, v65
	v_pk_add_f16 v56, v58, v56 neg_lo:[0,1] neg_hi:[0,1]
	v_add_f16_e32 v2, v2, v58
	v_sub_f16_e32 v39, v14, v13
	v_add_f16_e32 v13, v13, v14
	v_sub_f16_e32 v14, v6, v38
	v_add_f16_e32 v38, v38, v6
	v_add_f16_e32 v6, v44, v22
	v_lshrrev_b32_e32 v45, 16, v10
	v_pk_add_f16 v59, v65, v59 neg_lo:[0,1] neg_hi:[0,1]
	v_sub_f16_e32 v58, v63, v64
	v_add_f16_e32 v63, v64, v74
	v_mul_f16_e32 v64, 0xba52, v62
	v_pk_mul_f16 v65, 0x39e02b26, v56
	v_add_f16_e32 v74, v2, v4
	v_sub_f16_e32 v46, v22, v44
	v_sub_f16_e32 v22, v11, v22
	v_add_f16_e32 v6, v6, v11
	v_sub_f16_e32 v48, v10, v45
	v_lshrrev_b32_e32 v4, 16, v4
	s_wait_loadcnt 0x1
	v_lshrrev_b32_e32 v51, 16, v1
	v_pk_mul_f16 v75, 0xb5743846, v59
	v_alignbit_b32 v64, v64, v65, 16
	v_sub_f16_e32 v44, v44, v11
	v_add_f16_e32 v11, v45, v10
	v_mul_f16_e32 v22, 0x2b26, v22
	v_sub_f16_e32 v45, v45, v16
	v_add_f16_e32 v4, v6, v4
	v_mul_f16_e32 v48, 0x3846, v48
	v_add_f16_e32 v61, v27, v19
	v_sub_f16_e32 v60, v51, v32
	v_mul_f16_e32 v58, 0xbb00, v58
	s_wait_loadcnt 0x0
	v_perm_b32 v110, v1, v0, 0x5040100
	v_lshrrev_b32_e32 v1, 16, v75
	v_fmamk_f16 v2, v2, 0xbcab, v74
	v_fmamk_f16 v62, v62, 0x3a52, v65
	v_pk_fma_f16 v56, 0x39e02b26, v56, v64 neg_lo:[0,1,0] neg_hi:[0,1,0]
	v_perm_b32 v111, v19, v0, 0x7060302
	v_sub_f16_e32 v19, v19, v27
	v_add_f16_e32 v27, v32, v51
	v_add_f16_e32 v32, v49, v50
	v_sub_f16_e32 v10, v16, v10
	v_add_f16_e32 v11, v16, v11
	v_mul_f16_e32 v16, 0x3a52, v44
	v_fmamk_f16 v44, v44, 0x3a52, v22
	v_fma_f16 v22, v46, 0x39e0, -v22
	v_mul_f16_e32 v49, 0xbb00, v45
	v_fmamk_f16 v6, v6, 0xbcab, v4
	v_fma_f16 v45, v45, 0xbb00, -v48
	v_pk_add_f16 v64, v7, v110
	v_add_f16_e32 v1, v1, v75
	v_pk_fma_f16 v0, 0xb5743846, v59, v58 op_sel_hi:[1,1,0] neg_lo:[0,1,0] neg_hi:[0,1,1]
	v_add_f16_e32 v58, v62, v2
	v_pk_add_f16 v2, v56, v2 op_sel_hi:[1,0]
	v_pk_add_f16 v56, v111, v8 neg_lo:[0,1] neg_hi:[0,1]
	v_fma_f16 v16, v46, 0xb9e0, -v16
	v_fmamk_f16 v46, v10, 0xb574, v48
	v_fma_f16 v10, v10, 0x3574, -v49
	v_add_f16_e32 v22, v22, v6
	v_fmac_f16_e32 v45, 0xb70e, v11
	v_pk_add_f16 v8, v8, v111
	v_mul_f16_e32 v76, 0xb70e, v63
	v_lshrrev_b32_e32 v59, 16, v64
	v_fmac_f16_e32 v1, 0xb70e, v63
	v_alignbit_b32 v62, v61, v64, 16
	v_pack_b32_f16 v63, v60, v56
	v_add_f16_e32 v44, v44, v6
	v_add_f16_e32 v6, v16, v6
	v_fmac_f16_e32 v10, 0xb70e, v11
	v_fmac_f16_e32 v46, 0xb70e, v11
	v_add_f16_e32 v11, v45, v22
	v_sub_f16_e32 v16, v22, v45
	v_lshrrev_b32_e32 v45, 16, v8
	v_pk_add_f16 v7, v110, v7 neg_lo:[0,1] neg_hi:[0,1]
	v_add_f16_e32 v59, v61, v59
	v_add_f16_e32 v65, v60, v56
	v_lshrrev_b32_e32 v75, 16, v56
	v_sub_f16_e32 v61, v61, v64
	v_pk_add_f16 v62, v64, v62 neg_lo:[0,1] neg_hi:[0,1]
	v_pk_add_f16 v56, v56, v63 neg_lo:[0,1] neg_hi:[0,1]
	v_sub_f16_e32 v22, v6, v10
	v_add_f16_e32 v10, v10, v6
	v_sub_f16_e32 v48, v44, v46
	v_add_f16_e32 v44, v46, v44
	v_add_f16_e32 v6, v45, v27
	v_lshrrev_b32_e32 v46, 16, v7
	v_pk_add_f16 v0, v0, v76 op_sel_hi:[1,0]
	v_add_f16_e32 v59, v59, v64
	v_add_f16_e32 v63, v75, v65
	v_mul_f16_e32 v64, 0xba52, v61
	v_pk_mul_f16 v65, 0x39e02b26, v62
	v_pk_mul_f16 v76, 0xb5743846, v56
	v_sub_f16_e32 v60, v60, v75
	v_sub_f16_e32 v49, v27, v45
	;; [unrolled: 1-line block ×4, first 2 shown]
	v_add_f16_e32 v6, v6, v8
	v_add_f16_e32 v8, v46, v7
	;; [unrolled: 1-line block ×3, first 2 shown]
	v_alignbit_b32 v64, v64, v65, 16
	v_lshrrev_b32_e32 v78, 16, v76
	v_mul_f16_e32 v60, 0xbb00, v60
	v_sub_f16_e32 v50, v7, v46
	v_sub_f16_e32 v7, v19, v7
	v_mul_f16_e32 v27, 0x2b26, v27
	v_lshrrev_b32_e32 v3, 16, v3
	v_sub_f16_e32 v46, v46, v19
	v_add_f16_e32 v8, v19, v8
	v_mul_f16_e32 v19, 0x3a52, v45
	v_mul_f16_e32 v77, 0xb70e, v63
	v_fmamk_f16 v59, v59, 0xbcab, v75
	v_fmamk_f16 v61, v61, 0x3a52, v65
	v_pk_fma_f16 v62, 0x39e02b26, v62, v64 neg_lo:[0,1,0] neg_hi:[0,1,0]
	v_add_f16_e32 v64, v78, v76
	v_pk_fma_f16 v56, 0xb5743846, v56, v60 op_sel_hi:[1,1,0] neg_lo:[0,1,0] neg_hi:[0,1,1]
	v_fmamk_f16 v45, v45, 0x3a52, v27
	v_add_f16_e32 v3, v6, v3
	v_mul_f16_e32 v50, 0x3846, v50
	v_fma_f16 v27, v49, 0x39e0, -v27
	v_fma_f16 v19, v49, 0xb9e0, -v19
	v_mul_f16_e32 v49, 0xbb00, v46
	v_and_b32_e32 v51, 0xff, v28
	v_add_f16_e32 v61, v61, v59
	v_pk_add_f16 v59, v62, v59 op_sel_hi:[1,0]
	v_fmac_f16_e32 v64, 0xb70e, v63
	v_pk_add_f16 v56, v56, v77 op_sel_hi:[1,0]
	v_fmamk_f16 v6, v6, 0xbcab, v3
	v_fma_f16 v46, v46, 0xbb00, -v50
	v_fmamk_f16 v50, v7, 0xb574, v50
	v_fma_f16 v7, v7, 0x3574, -v49
	v_mul_lo_u16 v49, v51, 37
	v_add_f16_e32 v60, v58, v1
	v_pk_add_f16 v62, v2, v0
	v_pk_add_f16 v63, v2, v0 neg_lo:[0,1] neg_hi:[0,1]
	v_sub_f16_e32 v1, v58, v1
	v_add_f16_e32 v58, v61, v64
	v_pk_add_f16 v65, v59, v56
	v_pk_add_f16 v56, v59, v56 neg_lo:[0,1] neg_hi:[0,1]
	v_sub_f16_e32 v59, v61, v64
	v_add_f16_e32 v45, v45, v6
	v_add_f16_e32 v27, v27, v6
	v_fmac_f16_e32 v46, 0xb70e, v8
	v_add_f16_e32 v6, v19, v6
	v_fmac_f16_e32 v7, 0xb70e, v8
	v_lshrrev_b16 v19, 8, v49
	v_bfi_b32 v0, 0xffff, v60, v62
	v_alignbit_b32 v2, v1, v63, 16
	v_pack_b32_f16 v1, v63, v62
	v_bfi_b32 v58, 0xffff, v58, v65
	v_alignbit_b32 v60, v59, v56, 16
	v_pack_b32_f16 v59, v56, v65
	ds_store_b96 v5, v[71:73] offset:2744
	ds_store_b16 v5, v29 offset:2756
	ds_store_b16 v5, v74 offset:3430
	ds_store_b96 v5, v[0:2] offset:3432
	ds_store_b16 v5, v75 offset:4116
	ds_store_b96 v5, v[58:60] offset:4118
	v_lshl_add_u32 v29, v28, 1, 0
	v_add_f16_e32 v51, v46, v27
	v_sub_f16_e32 v27, v27, v46
	v_sub_f16_e32 v46, v6, v7
	v_add_f16_e32 v49, v7, v6
	v_sub_nc_u16 v6, v28, v19
	v_pack_b32_f16 v2, v69, v70
	v_pack_b32_f16 v1, v67, v68
	;; [unrolled: 1-line block ×3, first 2 shown]
	global_wb scope:SCOPE_SE
	s_wait_dscnt 0x0
	s_barrier_signal -1
	s_barrier_wait -1
	global_inv scope:SCOPE_SE
	ds_load_u16 v87, v29 offset:2254
	ds_load_u16 v85, v29 offset:2940
	;; [unrolled: 1-line block ×6, first 2 shown]
	ds_load_u16 v62, v29
	ds_load_u16 v61, v29 offset:98
	ds_load_u16 v60, v29 offset:196
	;; [unrolled: 1-line block ×42, first 2 shown]
	global_wb scope:SCOPE_SE
	s_wait_dscnt 0x0
	s_barrier_signal -1
	s_barrier_wait -1
	global_inv scope:SCOPE_SE
	ds_store_b96 v5, v[41:43]
	ds_store_b16 v5, v32 offset:12
	ds_store_b96 v5, v[0:2] offset:686
	ds_store_b16 v5, v40 offset:698
	v_lshrrev_b16 v6, 1, v6
	v_add_nc_u16 v32, v28, 49
	v_pack_b32_f16 v1, v35, v17
	v_pack_b32_f16 v0, v12, v34
	v_fmac_f16_e32 v50, 0xb70e, v8
	v_and_b32_e32 v12, 0x7f, v6
	v_and_b32_e32 v17, 0xff, v32
	v_pack_b32_f16 v6, v9, v24
	v_pack_b32_f16 v2, v20, v26
	v_sub_f16_e32 v52, v45, v50
	v_add_nc_u16 v9, v12, v19
	v_mul_lo_u16 v12, v17, 37
	v_add_f16_e32 v45, v50, v45
	v_pack_b32_f16 v8, v25, v21
	v_pack_b32_f16 v7, v37, v18
	ds_store_b96 v5, v[0:2] offset:1372
	ds_store_b16 v5, v33 offset:1384
	ds_store_b96 v5, v[6:8] offset:2058
	ds_store_b16 v5, v36 offset:2070
	v_lshrrev_b16 v12, 8, v12
	v_pack_b32_f16 v2, v23, v13
	v_pack_b32_f16 v7, v11, v16
	;; [unrolled: 1-line block ×3, first 2 shown]
	v_add_nc_u16 v49, v28, 0x62
	v_sub_nc_u16 v13, v32, v12
	v_pack_b32_f16 v1, v39, v15
	v_pack_b32_f16 v0, v47, v14
	v_lshrrev_b16 v105, 2, v9
	v_and_b32_e32 v53, 0xff, v49
	v_lshrrev_b16 v13, 1, v13
	v_pack_b32_f16 v8, v10, v44
	v_pack_b32_f16 v6, v48, v22
	ds_store_b96 v5, v[0:2] offset:2744
	ds_store_b16 v5, v38 offset:2756
	ds_store_b16 v5, v4 offset:3430
	ds_store_b96 v5, v[6:8] offset:3432
	v_and_b32_e32 v13, 0x7f, v13
	v_mul_lo_u16 v0, v53, 37
	v_mul_lo_u16 v9, v105, 7
	v_pack_b32_f16 v10, v51, v27
	v_add_nc_u16 v50, v28, 0x93
	v_add_nc_u16 v1, v13, v12
	v_lshrrev_b16 v4, 8, v0
	v_sub_nc_u16 v14, v28, v9
	v_pack_b32_f16 v9, v52, v46
	ds_store_b16 v5, v3 offset:4116
	ds_store_b96 v5, v[9:11] offset:4118
	v_lshrrev_b16 v107, 2, v1
	v_sub_nc_u16 v5, v49, v4
	v_and_b32_e32 v51, 0xff, v50
	v_and_b32_e32 v106, 0xff, v14
	v_add_nc_u32_e32 v46, 0xc4, v28
	v_mul_lo_u16 v6, v107, 7
	v_lshrrev_b16 v5, 1, v5
	global_wb scope:SCOPE_SE
	s_wait_dscnt 0x0
	v_mul_u32_u24_e32 v2, 6, v106
	v_and_b32_e32 v52, 0xff, v46
	v_sub_nc_u16 v6, v32, v6
	v_and_b32_e32 v5, 0x7f, v5
	s_barrier_signal -1
	v_lshlrev_b32_e32 v33, 2, v2
	s_barrier_wait -1
	v_and_b32_e32 v109, 0xff, v6
	v_add_nc_u16 v4, v5, v4
	v_mul_lo_u16 v6, v51, 37
	global_inv scope:SCOPE_SE
	global_load_b128 v[0:3], v33, s[4:5]
	v_mul_u32_u24_e32 v5, 6, v109
	v_lshrrev_b16 v108, 2, v4
	v_lshrrev_b16 v8, 8, v6
	v_add_nc_u32_e32 v47, 0xf5, v28
	v_add_nc_u32_e32 v48, 0x126, v28
	v_lshlrev_b32_e32 v32, 2, v5
	v_mul_lo_u16 v9, v108, 7
	v_sub_nc_u16 v10, v50, v8
	v_and_b32_e32 v54, 0xffff, v47
	v_and_b32_e32 v55, 0xffff, v48
	global_load_b128 v[4:7], v32, s[4:5]
	v_sub_nc_u16 v9, v49, v9
	v_lshrrev_b16 v10, 1, v10
	s_delay_alu instid0(VALU_DEP_2) | instskip(NEXT) | instid1(VALU_DEP_2)
	v_and_b32_e32 v111, 0xff, v9
	v_and_b32_e32 v9, 0x7f, v10
	v_mul_lo_u16 v10, v52, 37
	s_delay_alu instid0(VALU_DEP_3) | instskip(NEXT) | instid1(VALU_DEP_3)
	v_mul_u32_u24_e32 v11, 6, v111
	v_add_nc_u16 v8, v9, v8
	s_delay_alu instid0(VALU_DEP_3) | instskip(NEXT) | instid1(VALU_DEP_3)
	v_lshrrev_b16 v12, 8, v10
	v_lshlrev_b32_e32 v34, 2, v11
	s_delay_alu instid0(VALU_DEP_3) | instskip(NEXT) | instid1(VALU_DEP_3)
	v_lshrrev_b16 v110, 2, v8
	v_sub_nc_u16 v13, v46, v12
	global_load_b128 v[8:11], v34, s[4:5]
	v_mul_lo_u16 v14, v110, 7
	v_lshrrev_b16 v13, 1, v13
	s_delay_alu instid0(VALU_DEP_2) | instskip(NEXT) | instid1(VALU_DEP_2)
	v_sub_nc_u16 v14, v50, v14
	v_and_b32_e32 v13, 0x7f, v13
	s_delay_alu instid0(VALU_DEP_2) | instskip(NEXT) | instid1(VALU_DEP_2)
	v_and_b32_e32 v112, 0xff, v14
	v_add_nc_u16 v12, v13, v12
	v_mul_u32_u24_e32 v13, 0x2493, v54
	s_delay_alu instid0(VALU_DEP_3) | instskip(NEXT) | instid1(VALU_DEP_3)
	v_mul_u32_u24_e32 v14, 6, v112
	v_lshrrev_b16 v113, 2, v12
	s_delay_alu instid0(VALU_DEP_3) | instskip(NEXT) | instid1(VALU_DEP_3)
	v_lshrrev_b32_e32 v16, 16, v13
	v_lshlrev_b32_e32 v35, 2, v14
	s_delay_alu instid0(VALU_DEP_3) | instskip(NEXT) | instid1(VALU_DEP_3)
	v_mul_lo_u16 v17, v113, 7
	v_sub_nc_u16 v18, v47, v16
	global_load_b128 v[12:15], v35, s[4:5]
	v_sub_nc_u16 v17, v46, v17
	v_lshrrev_b16 v18, 1, v18
	s_delay_alu instid0(VALU_DEP_2) | instskip(NEXT) | instid1(VALU_DEP_2)
	v_and_b32_e32 v117, 0xff, v17
	v_add_nc_u16 v16, v18, v16
	s_delay_alu instid0(VALU_DEP_2) | instskip(NEXT) | instid1(VALU_DEP_2)
	v_mul_u32_u24_e32 v17, 6, v117
	v_lshrrev_b16 v118, 2, v16
	v_mul_u32_u24_e32 v16, 0x2493, v55
	s_delay_alu instid0(VALU_DEP_3) | instskip(NEXT) | instid1(VALU_DEP_3)
	v_lshlrev_b32_e32 v36, 2, v17
	v_mul_lo_u16 v17, v118, 7
	s_delay_alu instid0(VALU_DEP_3) | instskip(SKIP_3) | instid1(VALU_DEP_2)
	v_lshrrev_b32_e32 v16, 16, v16
	global_load_b128 v[20:23], v36, s[4:5]
	v_sub_nc_u16 v17, v47, v17
	v_sub_nc_u16 v18, v48, v16
	v_and_b32_e32 v114, 0xffff, v17
	s_delay_alu instid0(VALU_DEP_2) | instskip(NEXT) | instid1(VALU_DEP_2)
	v_lshrrev_b16 v17, 1, v18
	v_mul_u32_u24_e32 v18, 6, v114
	s_delay_alu instid0(VALU_DEP_2) | instskip(NEXT) | instid1(VALU_DEP_2)
	v_add_nc_u16 v16, v17, v16
	v_lshlrev_b32_e32 v119, 2, v18
	s_delay_alu instid0(VALU_DEP_2) | instskip(SKIP_2) | instid1(VALU_DEP_1)
	v_lshrrev_b16 v116, 2, v16
	global_load_b128 v[16:19], v119, s[4:5]
	v_mul_lo_u16 v24, v116, 7
	v_sub_nc_u16 v24, v48, v24
	s_delay_alu instid0(VALU_DEP_1) | instskip(NEXT) | instid1(VALU_DEP_1)
	v_and_b32_e32 v115, 0xffff, v24
	v_mul_u32_u24_e32 v24, 6, v115
	s_delay_alu instid0(VALU_DEP_1)
	v_lshlrev_b32_e32 v120, 2, v24
	s_clause 0x7
	global_load_b128 v[24:27], v120, s[4:5]
	global_load_b64 v[44:45], v33, s[4:5] offset:16
	global_load_b64 v[42:43], v32, s[4:5] offset:16
	;; [unrolled: 1-line block ×7, first 2 shown]
	ds_load_u16 v127, v29 offset:686
	ds_load_u16 v126, v29 offset:1372
	;; [unrolled: 1-line block ×11, first 2 shown]
	s_wait_loadcnt 0xd
	v_lshrrev_b32_e32 v129, 16, v0
	v_lshrrev_b32_e32 v130, 16, v2
	;; [unrolled: 1-line block ×3, first 2 shown]
	s_wait_dscnt 0xa
	s_delay_alu instid0(VALU_DEP_3)
	v_mul_f16_e64 v141, v127, v129
	v_mul_f16_e64 v129, v103, v129
	s_wait_dscnt 0x8
	v_mul_f16_e64 v153, v125, v130
	v_mul_f16_e64 v145, v126, v128
	v_fmac_f16_e64 v141, v103, v0
	v_lshrrev_b32_e32 v103, 16, v3
	v_fma_f16 v0, v127, v0, -v129
	v_mul_f16_e64 v129, v101, v130
	v_fmac_f16_e64 v153, v101, v2
	s_wait_loadcnt 0xc
	v_lshrrev_b32_e32 v101, 16, v4
	s_wait_dscnt 0x5
	v_mul_f16_e64 v154, v123, v103
	v_mul_f16_e64 v127, v102, v128
	v_fmac_f16_e64 v145, v102, v1
	ds_load_u16 v102, v29 offset:2842
	ds_load_u16 v128, v29 offset:2940
	;; [unrolled: 1-line block ×3, first 2 shown]
	v_mul_f16_e32 v103, v104, v103
	v_fma_f16 v2, v125, v2, -v129
	v_mul_f16_e64 v129, v122, v101
	v_fmac_f16_e64 v154, v104, v3
	v_lshrrev_b32_e32 v104, 16, v5
	ds_load_u16 v130, v29 offset:2646
	ds_load_u16 v125, v29 offset:882
	ds_load_u16 v142, v29 offset:980
	ds_load_u16 v143, v29 offset:1078
	ds_load_u16 v144, v29 offset:1176
	v_fmac_f16_e64 v129, v97, v4
	v_mul_f16_e32 v97, v97, v101
	v_mul_f16_e64 v131, v121, v104
	v_mul_f16_e32 v101, v99, v104
	ds_load_u16 v104, v29 offset:1568
	v_fma_f16 v3, v123, v3, -v103
	v_lshrrev_b32_e32 v103, 16, v6
	v_lshrrev_b32_e32 v123, 16, v7
	v_fma_f16 v136, v122, v4, -v97
	v_fmac_f16_e64 v131, v99, v5
	v_fma_f16 v138, v121, v5, -v101
	v_mul_f16_e32 v4, v98, v103
	v_mul_f16_e32 v5, v100, v123
	s_wait_loadcnt 0xb
	v_lshrrev_b32_e32 v97, 16, v8
	s_wait_dscnt 0xd
	v_mul_f16_e64 v132, v120, v103
	s_wait_dscnt 0x8
	v_mul_f16_e64 v134, v102, v123
	v_fma_f16 v135, v120, v6, -v4
	v_fma_f16 v137, v102, v7, -v5
	s_wait_dscnt 0x4
	v_mul_f16_e32 v120, v125, v97
	v_lshrrev_b32_e32 v4, 16, v9
	v_mul_f16_e32 v5, v94, v97
	v_fmac_f16_e64 v132, v98, v6
	v_fmac_f16_e64 v134, v100, v7
	ds_load_u16 v6, v29 offset:1666
	ds_load_u16 v7, v29 offset:1764
	;; [unrolled: 1-line block ×3, first 2 shown]
	s_wait_dscnt 0x3
	v_mul_f16_e32 v121, v104, v4
	v_lshrrev_b32_e32 v97, 16, v10
	v_fmac_f16_e32 v120, v94, v8
	v_mul_f16_e32 v4, v96, v4
	v_fma_f16 v125, v125, v8, -v5
	ds_load_u16 v8, v29 offset:2352
	v_fma_f16 v1, v126, v1, -v127
	v_lshrrev_b32_e32 v5, 16, v11
	v_fma_f16 v126, v104, v9, -v4
	v_mul_f16_e32 v4, v87, v97
	v_fmac_f16_e32 v121, v96, v9
	s_wait_loadcnt 0xa
	v_lshrrev_b32_e32 v9, 16, v12
	v_mul_f16_e64 v123, v128, v5
	v_mul_f16_e32 v5, v85, v5
	v_fma_f16 v127, v119, v10, -v4
	v_lshrrev_b32_e32 v4, 16, v13
	v_mul_f16_e64 v98, v142, v9
	v_mul_f16_e32 v9, v91, v9
	v_fma_f16 v128, v128, v11, -v5
	v_lshrrev_b32_e32 v5, 16, v14
	s_wait_dscnt 0x3
	v_mul_f16_e32 v99, v6, v4
	v_mul_f16_e32 v4, v92, v4
	;; [unrolled: 1-line block ×3, first 2 shown]
	v_fma_f16 v102, v142, v12, -v9
	v_lshrrev_b32_e32 v9, 16, v15
	s_wait_dscnt 0x0
	v_mul_f16_e32 v100, v8, v5
	v_mul_f16_e32 v5, v95, v5
	v_fma_f16 v119, v6, v13, -v4
	s_wait_loadcnt 0x9
	v_lshrrev_b32_e32 v6, 16, v20
	v_fmac_f16_e32 v122, v87, v10
	v_fmac_f16_e32 v123, v85, v11
	ds_load_u16 v10, v29 offset:2450
	ds_load_u16 v11, v29 offset:2548
	v_fmac_f16_e32 v98, v91, v12
	v_mul_f16_e32 v4, v76, v9
	v_fma_f16 v103, v8, v14, -v5
	v_mul_f16_e64 v91, v143, v6
	v_mul_f16_e32 v5, v83, v6
	ds_load_u16 v6, v29 offset:3136
	v_fma_f16 v104, v140, v15, -v4
	v_lshrrev_b32_e32 v4, 16, v21
	v_fmac_f16_e32 v99, v92, v13
	v_lshrrev_b32_e32 v8, 16, v22
	v_mul_f16_e64 v101, v140, v9
	v_fmac_f16_e32 v100, v95, v14
	v_mul_f16_e32 v92, v7, v4
	v_mul_f16_e32 v4, v84, v4
	v_fma_f16 v95, v143, v20, -v5
	v_lshrrev_b32_e32 v5, 16, v23
	v_fmac_f16_e32 v101, v76, v15
	v_fmac_f16_e32 v92, v84, v21
	s_wait_dscnt 0x2
	v_mul_f16_e32 v94, v10, v8
	v_fma_f16 v96, v7, v21, -v4
	v_mul_f16_e32 v4, v93, v8
	s_wait_loadcnt 0x8
	v_lshrrev_b32_e32 v7, 16, v16
	ds_load_u16 v8, v29 offset:3234
	ds_load_u16 v13, v29 offset:3332
	;; [unrolled: 1-line block ×7, first 2 shown]
	v_fmac_f16_e32 v94, v93, v22
	v_fmac_f16_e32 v91, v83, v20
	s_wait_dscnt 0x7
	v_mul_f16_e32 v93, v6, v5
	v_mul_f16_e32 v5, v90, v5
	v_fma_f16 v97, v10, v22, -v4
	v_mul_f16_e64 v76, v144, v7
	v_lshrrev_b32_e32 v4, 16, v17
	v_fmac_f16_e32 v93, v90, v23
	v_fma_f16 v90, v6, v23, -v5
	v_mul_f16_e32 v5, v74, v7
	v_fmac_f16_e32 v76, v74, v16
	v_mul_f16_e64 v74, v146, v4
	v_mul_f16_e32 v4, v73, v4
	v_lshrrev_b32_e32 v6, 16, v18
	v_fma_f16 v85, v144, v16, -v5
	v_lshrrev_b32_e32 v5, 16, v19
	s_wait_loadcnt 0x7
	v_lshrrev_b32_e32 v9, 16, v26
	v_fma_f16 v87, v146, v17, -v4
	v_mul_f16_e32 v83, v11, v6
	v_mul_f16_e32 v4, v79, v6
	v_lshrrev_b32_e32 v6, 16, v24
	s_wait_dscnt 0x6
	v_mul_f16_e32 v84, v8, v5
	v_mul_f16_e32 v7, v78, v5
	v_fmac_f16_e32 v83, v79, v18
	v_fma_f16 v79, v11, v18, -v4
	v_mul_f16_e64 v5, v133, v6
	v_lshrrev_b32_e32 v4, 16, v25
	v_mul_f16_e32 v6, v86, v6
	v_fmac_f16_e32 v84, v78, v19
	v_fma_f16 v78, v8, v19, -v7
	ds_load_u16 v10, v29 offset:4116
	v_mul_f16_e64 v7, v139, v4
	v_fma_f16 v11, v133, v24, -v6
	v_mul_f16_e32 v4, v81, v4
	v_lshrrev_b32_e32 v6, 16, v27
	v_mul_f16_e64 v8, v130, v9
	v_fmac_f16_e32 v74, v73, v17
	v_fmac_f16_e32 v7, v81, v25
	v_fma_f16 v12, v139, v25, -v4
	v_mul_f16_e32 v4, v88, v9
	s_wait_dscnt 0x6
	v_mul_f16_e32 v9, v13, v6
	v_mul_f16_e32 v6, v89, v6
	s_wait_loadcnt 0x5
	v_lshrrev_b32_e32 v17, 16, v42
	v_fmac_f16_e32 v5, v86, v24
	v_fmac_f16_e32 v8, v88, v26
	v_fma_f16 v20, v130, v26, -v4
	v_fma_f16 v73, v13, v27, -v6
	ds_load_u16 v6, v29 offset:4214
	v_lshrrev_b32_e32 v13, 16, v45
	ds_load_u16 v18, v29 offset:4312
	ds_load_u16 v19, v29 offset:4410
	;; [unrolled: 1-line block ×5, first 2 shown]
	s_wait_dscnt 0x8
	v_mul_f16_e64 v149, v140, v17
	v_mul_f16_e32 v17, v77, v17
	v_lshrrev_b32_e32 v26, 16, v43
	s_wait_dscnt 0x6
	v_mul_f16_e32 v25, v10, v13
	v_mul_f16_e32 v13, v82, v13
	v_lshrrev_b32_e32 v16, 16, v44
	v_fma_f16 v151, v140, v42, -v17
	v_mul_f16_e32 v17, v75, v26
	v_fmac_f16_e32 v9, v89, v27
	v_fma_f16 v10, v10, v45, -v13
	s_wait_loadcnt 0x4
	v_lshrrev_b32_e32 v13, 16, v40
	v_mul_f16_e64 v4, v142, v16
	v_mul_f16_e32 v16, v80, v16
	v_fmac_f16_e64 v149, v77, v42
	v_fmac_f16_e32 v25, v82, v45
	v_mul_f16_e64 v144, v14, v13
	v_mul_f16_e32 v13, v65, v13
	s_wait_dscnt 0x5
	v_mul_f16_e64 v150, v6, v26
	v_lshrrev_b32_e32 v26, 16, v41
	v_fma_f16 v152, v6, v43, -v17
	ds_load_u16 v17, v29 offset:3920
	v_fma_f16 v147, v14, v40, -v13
	s_wait_loadcnt 0x3
	v_lshrrev_b32_e32 v13, 16, v38
	v_mul_f16_e32 v6, v70, v26
	v_lshrrev_b32_e32 v14, 16, v39
	v_fma_f16 v16, v142, v44, -v16
	s_wait_dscnt 0x5
	v_mul_f16_e64 v146, v18, v26
	v_mul_f16_e64 v139, v15, v13
	v_fma_f16 v148, v18, v41, -v6
	v_mul_f16_e32 v6, v64, v13
	s_wait_dscnt 0x4
	v_mul_f16_e64 v140, v19, v14
	v_mul_f16_e32 v13, v69, v14
	s_wait_loadcnt 0x2
	v_lshrrev_b32_e32 v14, 16, v36
	v_fmac_f16_e32 v4, v80, v44
	v_fma_f16 v142, v15, v38, -v6
	v_lshrrev_b32_e32 v6, 16, v37
	v_fma_f16 v143, v19, v39, -v13
	v_mul_f16_e32 v86, v21, v14
	v_mul_f16_e32 v13, v63, v14
	ds_load_u16 v14, v29 offset:4704
	s_wait_loadcnt 0x1
	v_lshrrev_b32_e32 v15, 16, v34
	s_wait_dscnt 0x4
	v_mul_f16_e32 v89, v22, v6
	v_mul_f16_e32 v6, v68, v6
	v_fmac_f16_e64 v150, v75, v43
	v_fmac_f16_e64 v146, v70, v41
	s_wait_dscnt 0x1
	v_mul_f16_e32 v77, v17, v15
	v_mul_f16_e32 v15, v67, v15
	v_fma_f16 v133, v22, v37, -v6
	s_wait_loadcnt 0x0
	v_lshrrev_b32_e32 v6, 16, v32
	v_fma_f16 v130, v21, v36, -v13
	v_lshrrev_b32_e32 v13, 16, v35
	v_fma_f16 v81, v17, v34, -v15
	v_lshrrev_b32_e32 v15, 16, v33
	v_mul_f16_e32 v70, v24, v6
	v_mul_f16_e32 v6, v72, v6
	;; [unrolled: 1-line block ×4, first 2 shown]
	v_sub_f16_e64 v17, v154, v153
	v_fmac_f16_e32 v70, v72, v32
	s_wait_dscnt 0x0
	v_mul_f16_e32 v75, v14, v15
	v_mul_f16_e32 v15, v71, v15
	v_fma_f16 v72, v24, v32, -v6
	v_add_f16_e64 v6, v141, v25
	v_fma_f16 v82, v23, v35, -v13
	v_fmac_f16_e32 v75, v71, v33
	v_fma_f16 v71, v14, v33, -v15
	v_add_f16_e32 v14, v0, v10
	v_sub_f16_e32 v0, v0, v10
	v_add_f16_e64 v10, v145, v4
	v_sub_f16_e64 v4, v145, v4
	v_add_f16_e32 v15, v1, v16
	v_sub_f16_e32 v1, v1, v16
	v_add_f16_e64 v16, v153, v154
	v_add_f16_e32 v19, v10, v6
	v_sub_f16_e64 v13, v141, v25
	v_add_f16_e32 v18, v2, v3
	v_sub_f16_e32 v2, v3, v2
	v_sub_f16_e32 v3, v10, v6
	;; [unrolled: 1-line block ×4, first 2 shown]
	v_add_f16_e32 v16, v16, v19
	v_add_f16_e32 v19, v15, v14
	;; [unrolled: 1-line block ×3, first 2 shown]
	v_sub_f16_e32 v21, v15, v14
	v_sub_f16_e32 v14, v14, v18
	;; [unrolled: 1-line block ×3, first 2 shown]
	v_add_f16_e32 v18, v18, v19
	v_sub_f16_e32 v19, v17, v4
	v_sub_f16_e32 v17, v13, v17
	;; [unrolled: 1-line block ×3, first 2 shown]
	v_add_f16_e32 v13, v22, v13
	v_add_f16_e32 v22, v2, v1
	v_sub_f16_e32 v23, v2, v1
	v_sub_f16_e32 v2, v0, v2
	;; [unrolled: 1-line block ×3, first 2 shown]
	v_mul_f16_e32 v6, 0x3a52, v6
	v_add_f16_e32 v0, v22, v0
	ds_load_u16 v22, v29
	v_mul_f16_e32 v24, 0x2b26, v10
	v_mul_f16_e32 v14, 0x3a52, v14
	;; [unrolled: 1-line block ×3, first 2 shown]
	v_fmamk_f16 v10, v10, 0x2b26, v6
	v_mul_f16_e32 v23, 0x3846, v23
	v_fma_f16 v24, v3, 0x39e0, -v24
	v_fma_f16 v3, v3, 0xb9e0, -v6
	v_mul_f16_e32 v6, 0x3846, v19
	v_fmamk_f16 v15, v15, 0x2b26, v14
	v_fma_f16 v19, v21, 0x39e0, -v25
	v_fma_f16 v14, v21, 0xb9e0, -v14
	v_mul_f16_e32 v21, 0xbb00, v4
	v_fma_f16 v4, v4, 0xbb00, -v6
	v_fmamk_f16 v6, v17, 0xb574, v6
	v_add_f16_e32 v25, v62, v16
	v_fmac_f16_e64 v144, v65, v40
	v_fma_f16 v17, v17, 0x3574, -v21
	v_mul_f16_e32 v21, 0xbb00, v1
	v_fma_f16 v1, v1, 0xbb00, -v23
	s_wait_dscnt 0x0
	v_add_f16_e64 v155, v22, v18
	v_fmamk_f16 v16, v16, 0xbcab, v25
	v_fmac_f16_e32 v17, 0xb70e, v13
	v_fmac_f16_e32 v6, 0xb70e, v13
	;; [unrolled: 1-line block ×3, first 2 shown]
	v_fma_f16 v18, 0xbcab, v18, v155
	v_add_f16_e64 v13, v129, v150
	v_fmamk_f16 v22, v2, 0xb574, v23
	v_fma_f16 v2, v2, 0x3574, -v21
	v_add_f16_e32 v10, v10, v16
	v_add_f16_e32 v14, v14, v18
	;; [unrolled: 1-line block ×6, first 2 shown]
	v_sub_f16_e64 v158, v14, v17
	v_add_f16_e64 v159, v17, v14
	v_add_f16_e64 v14, v131, v149
	v_fmac_f16_e32 v1, 0xb70e, v0
	v_sub_f16_e64 v160, v15, v6
	v_add_f16_e64 v161, v6, v15
	v_add_f16_e64 v6, v132, v134
	v_add_f16_e32 v15, v14, v13
	v_sub_f16_e64 v17, v138, v151
	v_sub_f16_e64 v18, v137, v135
	v_fmac_f16_e32 v22, 0xb70e, v0
	v_fmac_f16_e32 v2, 0xb70e, v0
	v_sub_f16_e32 v0, v21, v1
	v_add_f16_e32 v1, v1, v21
	v_add_f16_e64 v156, v4, v16
	v_sub_f16_e64 v157, v16, v4
	v_sub_f16_e32 v16, v14, v13
	v_sub_f16_e32 v13, v13, v6
	v_sub_f16_e64 v19, v136, v152
	v_sub_f16_e32 v14, v6, v14
	v_add_f16_e32 v6, v6, v15
	v_add_f16_e32 v15, v18, v17
	v_sub_f16_e32 v21, v18, v17
	v_add_f16_e32 v4, v2, v3
	v_sub_f16_e32 v2, v3, v2
	;; [unrolled: 2-line block ×3, first 2 shown]
	v_sub_f16_e32 v18, v19, v18
	v_sub_f16_e32 v17, v17, v19
	v_add_f16_e32 v15, v15, v19
	v_mul_f16_e32 v19, 0x2b26, v14
	v_add_f16_e32 v22, v61, v6
	v_mul_f16_e32 v21, 0x3846, v21
	v_mul_f16_e32 v13, 0x3a52, v13
	;; [unrolled: 1-line block ×3, first 2 shown]
	v_fma_f16 v19, v16, 0x39e0, -v19
	v_fmamk_f16 v6, v6, 0xbcab, v22
	v_fma_f16 v17, v17, 0xbb00, -v21
	v_fmamk_f16 v14, v14, 0x2b26, v13
	v_fma_f16 v13, v16, 0xb9e0, -v13
	v_fma_f16 v16, v18, 0x3574, -v23
	v_fmamk_f16 v18, v18, 0xb574, v21
	v_add_f16_e32 v19, v19, v6
	v_fmac_f16_e32 v17, 0xb70e, v15
	v_add_f16_e32 v13, v13, v6
	v_fmac_f16_e32 v16, 0xb70e, v15
	;; [unrolled: 2-line block ×3, first 2 shown]
	v_sub_f16_e32 v14, v19, v17
	v_add_f16_e32 v15, v17, v19
	v_add_f16_e64 v19, v120, v146
	v_add_f16_e64 v21, v121, v144
	v_add_f16_e32 v17, v16, v13
	v_sub_f16_e32 v13, v13, v16
	v_add_f16_e32 v16, v18, v6
	v_sub_f16_e32 v6, v6, v18
	v_add_f16_e32 v18, v122, v123
	v_add_f16_e32 v23, v21, v19
	v_sub_f16_e64 v26, v126, v147
	v_sub_f16_e64 v27, v128, v127
	v_sub_f16_e32 v24, v21, v19
	v_sub_f16_e32 v19, v19, v18
	v_sub_f16_e64 v32, v125, v148
	v_sub_f16_e32 v21, v18, v21
	v_add_f16_e32 v18, v18, v23
	v_add_f16_e32 v23, v27, v26
	v_sub_f16_e32 v33, v27, v26
	v_fmac_f16_e32 v77, v67, v34
	v_sub_f16_e32 v27, v32, v27
	v_sub_f16_e32 v26, v26, v32
	v_add_f16_e32 v23, v23, v32
	v_mul_f16_e32 v32, 0x2b26, v21
	v_add_f16_e32 v34, v60, v18
	v_mul_f16_e32 v33, 0x3846, v33
	v_fmac_f16_e32 v80, v66, v35
	v_mul_f16_e32 v19, 0x3a52, v19
	v_mul_f16_e32 v35, 0xbb00, v26
	v_fma_f16 v32, v24, 0x39e0, -v32
	v_fmamk_f16 v18, v18, 0xbcab, v34
	v_fma_f16 v26, v26, 0xbb00, -v33
	v_fmac_f16_e64 v139, v64, v38
	v_fmac_f16_e64 v140, v69, v39
	v_fmamk_f16 v21, v21, 0x2b26, v19
	v_fma_f16 v19, v24, 0xb9e0, -v19
	v_fma_f16 v24, v27, 0x3574, -v35
	v_fmamk_f16 v27, v27, 0xb574, v33
	v_add_f16_e32 v32, v32, v18
	v_fmac_f16_e32 v26, 0xb70e, v23
	v_add_f16_e32 v19, v19, v18
	v_fmac_f16_e32 v24, 0xb70e, v23
	;; [unrolled: 2-line block ×3, first 2 shown]
	v_sub_f16_e32 v21, v32, v26
	v_add_f16_e32 v23, v26, v32
	v_add_f16_e64 v32, v98, v140
	v_add_f16_e64 v33, v99, v139
	v_fmac_f16_e32 v89, v68, v37
	v_add_f16_e32 v26, v24, v19
	v_sub_f16_e32 v19, v19, v24
	v_add_f16_e32 v24, v27, v18
	v_sub_f16_e32 v18, v18, v27
	v_add_f16_e32 v27, v100, v101
	v_add_f16_e32 v35, v33, v32
	v_sub_f16_e64 v37, v119, v142
	v_sub_f16_e32 v38, v104, v103
	v_fmac_f16_e32 v86, v63, v36
	v_sub_f16_e32 v36, v33, v32
	v_sub_f16_e32 v32, v32, v27
	v_sub_f16_e64 v39, v102, v143
	v_sub_f16_e32 v33, v27, v33
	v_add_f16_e32 v27, v27, v35
	v_add_f16_e32 v35, v38, v37
	v_sub_f16_e32 v40, v38, v37
	v_sub_f16_e32 v38, v39, v38
	;; [unrolled: 1-line block ×3, first 2 shown]
	v_add_f16_e32 v41, v59, v27
	v_add_f16_e32 v35, v35, v39
	v_mul_f16_e32 v39, 0x2b26, v33
	v_mul_f16_e32 v40, 0x3846, v40
	;; [unrolled: 1-line block ×4, first 2 shown]
	v_fmamk_f16 v27, v27, 0xbcab, v41
	v_fma_f16 v39, v36, 0x39e0, -v39
	v_fma_f16 v37, v37, 0xbb00, -v40
	v_fmamk_f16 v33, v33, 0x2b26, v32
	v_fma_f16 v32, v36, 0xb9e0, -v32
	v_fma_f16 v36, v38, 0x3574, -v42
	v_fmamk_f16 v38, v38, 0xb574, v40
	v_add_f16_e32 v39, v39, v27
	v_fmac_f16_e32 v37, 0xb70e, v35
	v_add_f16_e32 v32, v32, v27
	v_fmac_f16_e32 v36, 0xb70e, v35
	;; [unrolled: 2-line block ×3, first 2 shown]
	v_sub_f16_e32 v33, v39, v37
	v_add_f16_e32 v35, v37, v39
	v_add_f16_e32 v39, v91, v89
	;; [unrolled: 1-line block ×4, first 2 shown]
	v_sub_f16_e32 v32, v32, v36
	v_add_f16_e32 v36, v38, v27
	v_sub_f16_e32 v27, v27, v38
	v_add_f16_e32 v38, v94, v93
	v_add_f16_e32 v42, v40, v39
	v_sub_f16_e64 v44, v96, v130
	v_sub_f16_e32 v45, v90, v97
	v_sub_f16_e32 v43, v40, v39
	;; [unrolled: 1-line block ×3, first 2 shown]
	v_sub_f16_e64 v59, v95, v133
	v_sub_f16_e32 v40, v38, v40
	v_add_f16_e32 v38, v38, v42
	v_add_f16_e32 v42, v45, v44
	v_sub_f16_e32 v60, v45, v44
	v_sub_f16_e32 v45, v59, v45
	;; [unrolled: 1-line block ×3, first 2 shown]
	v_add_f16_e32 v58, v58, v38
	v_add_f16_e32 v42, v42, v59
	v_mul_f16_e32 v59, 0x2b26, v40
	v_mul_f16_e32 v60, 0x3846, v60
	;; [unrolled: 1-line block ×4, first 2 shown]
	v_fmamk_f16 v38, v38, 0xbcab, v58
	v_fma_f16 v59, v43, 0x39e0, -v59
	v_fma_f16 v44, v44, 0xbb00, -v60
	v_fmamk_f16 v40, v40, 0x2b26, v39
	v_fma_f16 v39, v43, 0xb9e0, -v39
	v_fma_f16 v43, v45, 0x3574, -v61
	v_fmamk_f16 v45, v45, 0xb574, v60
	v_add_f16_e32 v59, v59, v38
	v_fmac_f16_e32 v44, 0xb70e, v42
	v_add_f16_e32 v39, v39, v38
	v_fmac_f16_e32 v43, 0xb70e, v42
	;; [unrolled: 2-line block ×3, first 2 shown]
	v_sub_f16_e32 v40, v59, v44
	v_add_f16_e32 v42, v44, v59
	v_add_f16_e32 v59, v76, v80
	;; [unrolled: 1-line block ×4, first 2 shown]
	v_sub_f16_e32 v39, v39, v43
	v_add_f16_e32 v43, v45, v38
	v_sub_f16_e32 v38, v38, v45
	v_add_f16_e32 v45, v83, v84
	v_add_f16_e32 v61, v60, v59
	v_sub_f16_e32 v63, v87, v81
	v_sub_f16_e32 v64, v78, v79
	;; [unrolled: 1-line block ×6, first 2 shown]
	v_add_f16_e32 v45, v45, v61
	v_add_f16_e32 v61, v64, v63
	v_sub_f16_e32 v66, v64, v63
	v_sub_f16_e32 v64, v65, v64
	;; [unrolled: 1-line block ×3, first 2 shown]
	v_add_f16_e32 v56, v56, v45
	v_add_f16_e32 v61, v61, v65
	v_mul_f16_e32 v65, 0x2b26, v60
	v_mul_f16_e32 v66, 0x3846, v66
	;; [unrolled: 1-line block ×4, first 2 shown]
	v_fmamk_f16 v45, v45, 0xbcab, v56
	v_fma_f16 v65, v62, 0x39e0, -v65
	v_fma_f16 v63, v63, 0xbb00, -v66
	v_fmamk_f16 v60, v60, 0x2b26, v59
	v_fma_f16 v59, v62, 0xb9e0, -v59
	v_fma_f16 v62, v64, 0x3574, -v67
	v_fmamk_f16 v64, v64, 0xb574, v66
	v_add_f16_e32 v65, v65, v45
	v_fmac_f16_e32 v63, 0xb70e, v61
	v_add_f16_e32 v59, v59, v45
	v_fmac_f16_e32 v62, 0xb70e, v61
	;; [unrolled: 2-line block ×3, first 2 shown]
	v_sub_f16_e32 v60, v65, v63
	v_add_f16_e32 v61, v63, v65
	v_add_f16_e32 v65, v5, v75
	;; [unrolled: 1-line block ×4, first 2 shown]
	v_sub_f16_e32 v59, v59, v62
	v_add_f16_e32 v62, v64, v45
	v_sub_f16_e32 v45, v45, v64
	v_add_f16_e32 v64, v8, v9
	v_add_f16_e32 v67, v66, v65
	v_sub_f16_e32 v69, v12, v72
	v_sub_f16_e64 v162, v73, v20
	v_sub_f16_e32 v68, v66, v65
	v_sub_f16_e32 v65, v65, v64
	v_sub_f16_e64 v163, v11, v71
	v_sub_f16_e32 v66, v64, v66
	v_add_f16_e32 v64, v64, v67
	v_add_f16_e64 v67, v162, v69
	v_sub_f16_e64 v164, v162, v69
	v_sub_f16_e64 v162, v163, v162
	;; [unrolled: 1-line block ×3, first 2 shown]
	v_mul_f16_e32 v65, 0x3a52, v65
	v_add_f16_e64 v67, v67, v163
	v_mul_f16_e64 v163, 0x2b26, v66
	v_add_f16_e32 v57, v57, v64
	v_mul_f16_e64 v164, 0x3846, v164
	v_fmamk_f16 v66, v66, 0x2b26, v65
	v_fma_f16 v65, v68, 0xb9e0, -v65
	v_fma_f16 v163, v68, 0x39e0, -v163
	v_mul_f16_e32 v68, 0xbb00, v69
	v_fmamk_f16 v64, v64, 0xbcab, v57
	v_fma_f16 v69, v69, 0xbb00, -v164
	v_fma_f16 v164, 0xb574, v162, v164
	ds_load_u16 v154, v29 offset:98
	ds_load_u16 v153, v29 offset:196
	;; [unrolled: 1-line block ×5, first 2 shown]
	v_fma_f16 v68, v162, 0x3574, -v68
	v_add_f16_e32 v66, v66, v64
	v_add_f16_e64 v162, v163, v64
	v_add_f16_e32 v64, v65, v64
	v_and_b32_e32 v65, 0xffff, v105
	v_fmac_f16_e64 v164, 0xb70e, v67
	v_lshlrev_b32_e32 v105, 1, v106
	v_fmac_f16_e32 v69, 0xb70e, v67
	v_fmac_f16_e32 v68, 0xb70e, v67
	v_mul_u32_u24_e32 v65, 0x62, v65
	v_add_f16_e64 v163, v164, v66
	v_sub_f16_e64 v66, v66, v164
	v_sub_f16_e64 v67, v162, v69
	v_add_f16_e64 v69, v69, v162
	v_add3_u32 v164, 0, v65, v105
	v_add_f16_e64 v162, v68, v64
	v_sub_f16_e32 v64, v64, v68
	v_and_b32_e32 v68, 0xffff, v107
	global_wb scope:SCOPE_SE
	s_wait_dscnt 0x0
	s_barrier_signal -1
	s_barrier_wait -1
	global_inv scope:SCOPE_SE
	ds_store_b16 v164, v25
	ds_store_b16 v164, v3 offset:14
	ds_store_b16 v164, v4 offset:28
	;; [unrolled: 1-line block ×6, first 2 shown]
	v_and_b32_e32 v0, 0xffff, v110
	v_and_b32_e32 v1, 0xffff, v113
	v_mul_u32_u24_e32 v65, 0x62, v68
	v_lshlrev_b32_e32 v68, 1, v109
	v_and_b32_e32 v105, 0xffff, v108
	v_mul_u32_u24_e32 v0, 0x62, v0
	v_lshlrev_b32_e32 v2, 1, v112
	v_mul_u32_u24_e32 v1, 0x62, v1
	v_lshlrev_b32_e32 v3, 1, v117
	v_add_f16_e64 v110, v136, v152
	v_add_f16_e64 v112, v138, v151
	v_add3_u32 v109, 0, v65, v68
	v_mul_u32_u24_e32 v65, 0x62, v105
	v_add3_u32 v108, 0, v0, v2
	v_add3_u32 v105, 0, v1, v3
	v_and_b32_e32 v0, 0xffff, v116
	v_lshlrev_b32_e32 v2, 1, v114
	v_lshlrev_b32_e32 v3, 1, v115
	v_sub_f16_e64 v113, v129, v150
	v_add_f16_e64 v114, v135, v137
	v_sub_f16_e64 v115, v131, v149
	v_add_f16_e32 v116, v112, v110
	v_sub_f16_e64 v117, v134, v132
	v_and_b32_e32 v4, 0xffff, v118
	v_sub_f16_e32 v118, v112, v110
	v_sub_f16_e32 v110, v110, v114
	;; [unrolled: 1-line block ×3, first 2 shown]
	v_add_f16_e32 v114, v114, v116
	v_add_f16_e32 v116, v117, v115
	v_sub_f16_e64 v129, v117, v115
	v_sub_f16_e32 v115, v115, v113
	v_sub_f16_e32 v117, v113, v117
	v_mul_f16_e32 v110, 0x3a52, v110
	v_add_f16_e32 v113, v116, v113
	v_mul_f16_e32 v116, 0x2b26, v112
	v_add_f16_e64 v131, v154, v114
	v_mul_f16_e64 v129, 0x3846, v129
	v_mul_f16_e64 v132, 0xbb00, v115
	v_fmamk_f16 v112, v112, 0x2b26, v110
	v_fma_f16 v116, v118, 0x39e0, -v116
	v_fma_f16 v114, 0xbcab, v114, v131
	v_fma_f16 v115, v115, 0xbb00, -v129
	v_fma_f16 v110, v118, 0xb9e0, -v110
	;; [unrolled: 1-line block ×3, first 2 shown]
	v_fma_f16 v117, 0xb574, v117, v129
	v_add_f16_e32 v116, v116, v114
	v_fmac_f16_e32 v115, 0xb70e, v113
	v_add_f16_e32 v110, v110, v114
	v_fmac_f16_e32 v118, 0xb70e, v113
	v_add_f16_e32 v112, v112, v114
	v_fmac_f16_e32 v117, 0xb70e, v113
	v_add_f16_e32 v113, v115, v116
	v_sub_f16_e32 v114, v116, v115
	v_sub_f16_e32 v115, v110, v118
	v_add_f16_e32 v110, v118, v110
	v_add_f16_e64 v118, v125, v148
	v_add_f16_e64 v125, v126, v147
	v_sub_f16_e32 v116, v112, v117
	v_add_f16_e32 v112, v117, v112
	v_sub_f16_e64 v117, v120, v146
	v_add_f16_e64 v120, v127, v128
	v_sub_f16_e64 v121, v121, v144
	v_add_f16_e32 v126, v125, v118
	v_sub_f16_e32 v122, v123, v122
	v_sub_f16_e32 v123, v125, v118
	;; [unrolled: 1-line block ×4, first 2 shown]
	v_add_f16_e32 v120, v120, v126
	v_add_f16_e32 v126, v122, v121
	v_sub_f16_e32 v127, v122, v121
	v_sub_f16_e32 v121, v121, v117
	v_lshlrev_b32_e32 v68, 1, v111
	v_mul_u32_u24_e32 v1, 0x62, v4
	v_sub_f16_e32 v122, v117, v122
	v_mul_f16_e32 v118, 0x3a52, v118
	v_mul_f16_e64 v128, 0x2b26, v125
	v_add_f16_e32 v117, v126, v117
	v_add_f16_e64 v126, v153, v120
	v_mul_f16_e32 v127, 0x3846, v127
	v_mul_f16_e64 v129, 0xbb00, v121
	v_add3_u32 v111, 0, v65, v68
	v_mul_u32_u24_e32 v0, 0x62, v0
	v_add3_u32 v107, 0, v1, v2
	v_fmamk_f16 v125, v125, 0x2b26, v118
	v_fma_f16 v128, v123, 0x39e0, -v128
	v_fmamk_f16 v120, v120, 0xbcab, v126
	v_fma_f16 v118, v123, 0xb9e0, -v118
	;; [unrolled: 2-line block ×3, first 2 shown]
	v_fma_f16 v121, v121, 0xbb00, -v127
	ds_store_b16 v109, v22
	ds_store_b16 v109, v16 offset:14
	ds_store_b16 v109, v17 offset:28
	ds_store_b16 v109, v14 offset:42
	ds_store_b16 v109, v15 offset:56
	ds_store_b16 v109, v13 offset:70
	ds_store_b16 v109, v6 offset:84
	ds_store_b16 v111, v34
	ds_store_b16 v111, v24 offset:14
	ds_store_b16 v111, v26 offset:28
	ds_store_b16 v111, v21 offset:42
	ds_store_b16 v111, v23 offset:56
	ds_store_b16 v111, v19 offset:70
	ds_store_b16 v111, v18 offset:84
	;; [unrolled: 7-line block ×4, first 2 shown]
	v_add3_u32 v106, 0, v0, v3
	ds_store_b16 v107, v56
	ds_store_b16 v107, v62 offset:14
	ds_store_b16 v107, v63 offset:28
	ds_store_b16 v107, v60 offset:42
	ds_store_b16 v107, v61 offset:56
	ds_store_b16 v107, v59 offset:70
	ds_store_b16 v107, v45 offset:84
	ds_store_b16 v106, v57
	ds_store_b16 v106, v163 offset:14
	ds_store_b16 v106, v162 offset:28
	;; [unrolled: 1-line block ×6, first 2 shown]
	global_wb scope:SCOPE_SE
	s_wait_dscnt 0x0
	s_barrier_signal -1
	s_barrier_wait -1
	global_inv scope:SCOPE_SE
	ds_load_u16 v56, v29 offset:2254
	ds_load_u16 v45, v29 offset:2940
	;; [unrolled: 1-line block ×6, first 2 shown]
	ds_load_u16 v10, v29
	ds_load_u16 v6, v29 offset:98
	ds_load_u16 v4, v29 offset:196
	;; [unrolled: 1-line block ×42, first 2 shown]
	global_wb scope:SCOPE_SE
	s_wait_dscnt 0x0
	s_barrier_signal -1
	s_barrier_wait -1
	global_inv scope:SCOPE_SE
	ds_store_b16 v164, v155
	ds_store_b16 v164, v160 offset:14
	ds_store_b16 v164, v158 offset:28
	;; [unrolled: 1-line block ×6, first 2 shown]
	ds_store_b16 v109, v131
	ds_store_b16 v109, v116 offset:14
	ds_store_b16 v109, v115 offset:28
	;; [unrolled: 1-line block ×6, first 2 shown]
	v_add_f16_e64 v102, v102, v143
	v_add_f16_e64 v116, v119, v142
	v_add_f16_e32 v125, v125, v120
	v_fmac_f16_e32 v123, 0xb70e, v117
	v_add_f16_e32 v118, v118, v120
	v_fmac_f16_e32 v122, 0xb70e, v117
	v_add_f16_e64 v127, v128, v120
	v_fmac_f16_e32 v121, 0xb70e, v117
	v_sub_f16_e64 v98, v98, v140
	v_add_f16_e32 v103, v103, v104
	v_sub_f16_e64 v99, v99, v139
	v_add_f16_e32 v104, v116, v102
	v_sub_f16_e32 v100, v101, v100
	v_sub_f16_e32 v112, v125, v123
	;; [unrolled: 1-line block ×3, first 2 shown]
	v_add_f16_e32 v109, v121, v127
	v_sub_f16_e32 v110, v127, v121
	v_add_f16_e32 v114, v122, v118
	v_add_f16_e32 v115, v123, v125
	ds_store_b16 v111, v126
	ds_store_b16 v111, v112 offset:14
	ds_store_b16 v111, v113 offset:28
	;; [unrolled: 1-line block ×6, first 2 shown]
	v_sub_f16_e32 v101, v116, v102
	v_sub_f16_e32 v102, v102, v103
	;; [unrolled: 1-line block ×3, first 2 shown]
	v_add_f16_e32 v103, v103, v104
	v_add_f16_e32 v104, v100, v99
	v_sub_f16_e32 v110, v100, v99
	v_sub_f16_e32 v99, v99, v98
	v_add_f16_e32 v11, v11, v71
	v_add_f16_e32 v12, v12, v72
	v_sub_f16_e32 v100, v98, v100
	v_mul_f16_e32 v102, 0x3a52, v102
	v_add_f16_e32 v98, v104, v98
	v_mul_f16_e32 v104, 0x2b26, v109
	v_add_f16_e64 v111, v145, v103
	v_mul_f16_e32 v110, 0x3846, v110
	v_mul_f16_e32 v112, 0xbb00, v99
	v_add_f16_e64 v95, v95, v133
	v_add_f16_e64 v96, v96, v130
	v_add_f16_e32 v82, v85, v82
	v_add_f16_e32 v81, v87, v81
	v_sub_f16_e32 v5, v5, v75
	v_add_f16_e32 v20, v20, v73
	v_sub_f16_e32 v7, v7, v70
	;; [unrolled: 2-line block ×3, first 2 shown]
	v_fmamk_f16 v109, v109, 0x2b26, v102
	v_fma_f16 v104, v101, 0x39e0, -v104
	v_fmamk_f16 v103, v103, 0xbcab, v111
	v_fma_f16 v99, v99, 0xbb00, -v110
	v_fma_f16 v101, v101, 0xb9e0, -v102
	;; [unrolled: 1-line block ×3, first 2 shown]
	v_fmamk_f16 v100, v100, 0xb574, v110
	v_sub_f16_e32 v89, v91, v89
	v_add_f16_e32 v90, v97, v90
	v_sub_f16_e32 v86, v92, v86
	v_add_f16_e32 v91, v96, v95
	v_sub_f16_e32 v92, v93, v94
	v_sub_f16_e32 v76, v76, v80
	v_add_f16_e32 v78, v79, v78
	v_sub_f16_e32 v74, v74, v77
	v_add_f16_e32 v77, v81, v82
	v_sub_f16_e32 v79, v84, v83
	v_sub_f16_e32 v9, v12, v11
	v_sub_f16_e32 v11, v11, v20
	v_sub_f16_e32 v12, v20, v12
	v_add_f16_e32 v20, v20, v70
	v_add_f16_e32 v70, v8, v7
	v_sub_f16_e32 v72, v8, v7
	v_sub_f16_e32 v7, v7, v5
	v_add_f16_e32 v104, v104, v103
	v_fmac_f16_e32 v99, 0xb70e, v98
	v_add_f16_e32 v101, v101, v103
	v_fmac_f16_e32 v102, 0xb70e, v98
	;; [unrolled: 2-line block ×3, first 2 shown]
	v_sub_f16_e32 v93, v96, v95
	v_sub_f16_e32 v94, v95, v90
	v_sub_f16_e32 v95, v90, v96
	v_add_f16_e32 v90, v90, v91
	v_add_f16_e32 v91, v92, v86
	v_sub_f16_e32 v96, v92, v86
	v_sub_f16_e32 v86, v86, v89
	;; [unrolled: 1-line block ×5, first 2 shown]
	v_add_f16_e32 v77, v78, v77
	v_add_f16_e32 v78, v79, v74
	v_sub_f16_e32 v83, v79, v74
	v_sub_f16_e32 v74, v74, v76
	v_sub_f16_e32 v8, v5, v8
	v_mul_f16_e32 v11, 0x3a52, v11
	v_add_f16_e32 v5, v70, v5
	v_mul_f16_e32 v70, 0x2b26, v12
	v_add_f16_e32 v73, v124, v20
	v_mul_f16_e32 v72, 0x3846, v72
	v_mul_f16_e32 v75, 0xbb00, v7
	v_add_f16_e32 v98, v99, v104
	v_sub_f16_e32 v99, v104, v99
	v_sub_f16_e32 v104, v101, v102
	v_add_f16_e32 v101, v102, v101
	v_sub_f16_e32 v102, v103, v100
	v_add_f16_e32 v100, v100, v103
	v_sub_f16_e32 v92, v89, v92
	v_mul_f16_e32 v94, 0x3a52, v94
	v_add_f16_e32 v89, v91, v89
	v_mul_f16_e32 v91, 0x2b26, v95
	v_add_f16_e64 v97, v141, v90
	v_mul_f16_e32 v96, 0x3846, v96
	v_mul_f16_e32 v103, 0xbb00, v86
	v_sub_f16_e32 v79, v76, v79
	v_mul_f16_e32 v82, 0x3a52, v82
	v_add_f16_e32 v76, v78, v76
	v_mul_f16_e32 v78, 0x2b26, v81
	v_add_f16_e32 v84, v88, v77
	v_mul_f16_e32 v83, 0x3846, v83
	v_mul_f16_e32 v87, 0xbb00, v74
	v_fmamk_f16 v12, v12, 0x2b26, v11
	v_fma_f16 v70, v9, 0x39e0, -v70
	v_fmamk_f16 v20, v20, 0xbcab, v73
	v_fma_f16 v9, v9, 0xb9e0, -v11
	v_fma_f16 v11, v8, 0x3574, -v75
	v_fmamk_f16 v8, v8, 0xb574, v72
	v_fmamk_f16 v95, v95, 0x2b26, v94
	v_fma_f16 v91, v93, 0x39e0, -v91
	v_fmamk_f16 v90, v90, 0xbcab, v97
	v_fma_f16 v86, v86, 0xbb00, -v96
	v_fma_f16 v93, v93, 0xb9e0, -v94
	;; [unrolled: 1-line block ×3, first 2 shown]
	v_fmamk_f16 v92, v92, 0xb574, v96
	v_fmamk_f16 v81, v81, 0x2b26, v82
	v_fma_f16 v78, v80, 0x39e0, -v78
	v_fmamk_f16 v77, v77, 0xbcab, v84
	v_fma_f16 v80, v80, 0xb9e0, -v82
	v_fma_f16 v82, v79, 0x3574, -v87
	v_fmamk_f16 v79, v79, 0xb574, v83
	v_fma_f16 v74, v74, 0xbb00, -v83
	v_fma_f16 v7, v7, 0xbb00, -v72
	v_add_f16_e32 v9, v9, v20
	v_fmac_f16_e32 v11, 0xb70e, v5
	v_add_f16_e32 v12, v12, v20
	v_fmac_f16_e32 v8, 0xb70e, v5
	v_add_f16_e32 v91, v91, v90
	v_fmac_f16_e32 v86, 0xb70e, v89
	v_add_f16_e32 v93, v93, v90
	v_fmac_f16_e32 v94, 0xb70e, v89
	v_add_f16_e32 v90, v95, v90
	v_fmac_f16_e32 v92, 0xb70e, v89
	v_add_f16_e32 v78, v78, v77
	v_add_f16_e32 v80, v80, v77
	;; [unrolled: 1-line block ×3, first 2 shown]
	v_fmac_f16_e32 v79, 0xb70e, v76
	v_fmac_f16_e32 v74, 0xb70e, v76
	;; [unrolled: 1-line block ×3, first 2 shown]
	v_add_f16_e32 v70, v70, v20
	v_fmac_f16_e32 v7, 0xb70e, v5
	v_sub_f16_e32 v20, v9, v11
	v_add_f16_e32 v9, v11, v9
	v_sub_f16_e32 v11, v12, v8
	v_add_f16_e32 v8, v8, v12
	v_mul_lo_u16 v12, 0x4f, v53
	v_add_f16_e32 v89, v86, v91
	v_sub_f16_e32 v86, v91, v86
	v_sub_f16_e32 v91, v93, v94
	v_add_f16_e32 v93, v94, v93
	v_sub_f16_e32 v94, v90, v92
	v_sub_f16_e32 v81, v77, v79
	;; [unrolled: 3-line block ×3, first 2 shown]
	v_add_f16_e32 v5, v7, v70
	v_sub_f16_e32 v7, v70, v7
	v_add_f16_e32 v85, v92, v90
	v_add_f16_e32 v80, v82, v80
	;; [unrolled: 1-line block ×3, first 2 shown]
	ds_store_b16 v108, v111
	ds_store_b16 v108, v102 offset:14
	ds_store_b16 v108, v104 offset:28
	ds_store_b16 v108, v98 offset:42
	ds_store_b16 v108, v99 offset:56
	ds_store_b16 v108, v101 offset:70
	ds_store_b16 v108, v100 offset:84
	ds_store_b16 v105, v97
	ds_store_b16 v105, v94 offset:14
	ds_store_b16 v105, v91 offset:28
	;; [unrolled: 1-line block ×6, first 2 shown]
	v_lshrrev_b16 v53, 8, v12
	ds_store_b16 v107, v84
	ds_store_b16 v107, v81 offset:14
	ds_store_b16 v107, v78 offset:28
	;; [unrolled: 1-line block ×6, first 2 shown]
	ds_store_b16 v106, v73
	ds_store_b16 v106, v11 offset:14
	ds_store_b16 v106, v20 offset:28
	;; [unrolled: 1-line block ×6, first 2 shown]
	v_mul_lo_u16 v7, 0x4f, v51
	v_mul_u32_u24_e32 v12, 6, v28
	v_sub_nc_u16 v70, v49, v53
	v_mul_lo_u16 v9, 0x4f, v52
	global_wb scope:SCOPE_SE
	s_wait_dscnt 0x0
	v_lshrrev_b16 v7, 8, v7
	v_lshlrev_b32_e32 v12, 2, v12
	v_lshrrev_b16 v5, 1, v70
	s_barrier_signal -1
	s_barrier_wait -1
	v_sub_nc_u16 v8, v50, v7
	global_inv scope:SCOPE_SE
	v_and_b32_e32 v5, 0x7f, v5
	global_load_b128 v[70:73], v12, s[4:5] offset:168
	v_lshrrev_b16 v8, 1, v8
	v_add_nc_u16 v5, v5, v53
	v_mul_u32_u24_e32 v53, 0x4e5f, v55
	s_delay_alu instid0(VALU_DEP_3) | instskip(NEXT) | instid1(VALU_DEP_3)
	v_and_b32_e32 v8, 0x7f, v8
	v_lshrrev_b16 v5, 5, v5
	s_delay_alu instid0(VALU_DEP_2) | instskip(SKIP_1) | instid1(VALU_DEP_3)
	v_add_nc_u16 v7, v8, v7
	v_lshrrev_b16 v8, 8, v9
	v_mul_lo_u16 v5, v5, 49
	s_delay_alu instid0(VALU_DEP_3) | instskip(NEXT) | instid1(VALU_DEP_3)
	v_lshrrev_b16 v7, 5, v7
	v_sub_nc_u16 v9, v46, v8
	s_delay_alu instid0(VALU_DEP_3) | instskip(NEXT) | instid1(VALU_DEP_3)
	v_sub_nc_u16 v5, v49, v5
	v_mul_lo_u16 v7, v7, 49
	s_delay_alu instid0(VALU_DEP_3) | instskip(NEXT) | instid1(VALU_DEP_3)
	v_lshrrev_b16 v9, 1, v9
	v_and_b32_e32 v5, 0xff, v5
	s_delay_alu instid0(VALU_DEP_3) | instskip(NEXT) | instid1(VALU_DEP_3)
	v_sub_nc_u16 v7, v50, v7
	v_and_b32_e32 v9, 0x7f, v9
	s_delay_alu instid0(VALU_DEP_3) | instskip(SKIP_1) | instid1(VALU_DEP_4)
	v_mul_u32_u24_e32 v11, 6, v5
	v_lshl_add_u32 v5, v5, 1, 0
	v_and_b32_e32 v7, 0xff, v7
	s_delay_alu instid0(VALU_DEP_4) | instskip(SKIP_2) | instid1(VALU_DEP_4)
	v_add_nc_u16 v8, v9, v8
	v_mul_u32_u24_e32 v9, 0x4e5f, v54
	v_lshlrev_b32_e32 v20, 2, v11
	v_mul_u32_u24_e32 v11, 6, v7
	s_delay_alu instid0(VALU_DEP_4) | instskip(NEXT) | instid1(VALU_DEP_4)
	v_lshrrev_b16 v8, 5, v8
	v_lshrrev_b32_e32 v9, 16, v9
	global_load_b128 v[74:77], v20, s[4:5] offset:168
	v_lshl_add_u32 v7, v7, 1, 0
	v_lshlrev_b32_e32 v78, 2, v11
	v_mul_lo_u16 v8, v8, 49
	v_sub_nc_u16 v11, v47, v9
	global_load_b128 v[49:52], v78, s[4:5] offset:168
	v_sub_nc_u16 v8, v46, v8
	v_lshrrev_b16 v11, 1, v11
	s_delay_alu instid0(VALU_DEP_2) | instskip(NEXT) | instid1(VALU_DEP_2)
	v_and_b32_e32 v8, 0xff, v8
	v_add_nc_u16 v9, v11, v9
	s_delay_alu instid0(VALU_DEP_2) | instskip(NEXT) | instid1(VALU_DEP_2)
	v_mul_u32_u24_e32 v11, 6, v8
	v_lshrrev_b16 v9, 5, v9
	v_lshl_add_u32 v8, v8, 1, 0
	s_delay_alu instid0(VALU_DEP_3) | instskip(NEXT) | instid1(VALU_DEP_3)
	v_lshlrev_b32_e32 v55, 2, v11
	v_mul_lo_u16 v9, v9, 49
	v_lshrrev_b32_e32 v11, 16, v53
	global_load_b128 v[98:101], v55, s[4:5] offset:168
	v_sub_nc_u16 v9, v47, v9
	v_sub_nc_u16 v53, v48, v11
	s_delay_alu instid0(VALU_DEP_2) | instskip(NEXT) | instid1(VALU_DEP_2)
	v_and_b32_e32 v9, 0xffff, v9
	v_lshrrev_b16 v53, 1, v53
	s_delay_alu instid0(VALU_DEP_2) | instskip(NEXT) | instid1(VALU_DEP_2)
	v_mul_u32_u24_e32 v54, 6, v9
	v_add_nc_u16 v11, v53, v11
	v_lshl_add_u32 v9, v9, 1, 0
	s_delay_alu instid0(VALU_DEP_3) | instskip(NEXT) | instid1(VALU_DEP_3)
	v_lshlrev_b32_e32 v79, 2, v54
	v_lshrrev_b16 v11, 5, v11
	global_load_b128 v[102:105], v79, s[4:5] offset:168
	v_mul_lo_u16 v11, v11, 49
	s_delay_alu instid0(VALU_DEP_1) | instskip(NEXT) | instid1(VALU_DEP_1)
	v_sub_nc_u16 v11, v48, v11
	v_and_b32_e32 v11, 0xffff, v11
	s_delay_alu instid0(VALU_DEP_1) | instskip(SKIP_1) | instid1(VALU_DEP_2)
	v_mul_u32_u24_e32 v53, 6, v11
	v_lshl_add_u32 v11, v11, 1, 0
	v_lshlrev_b32_e32 v80, 2, v53
	s_clause 0x6
	global_load_b128 v[106:109], v80, s[4:5] offset:168
	global_load_b64 v[53:54], v12, s[4:5] offset:184
	global_load_b64 v[83:84], v20, s[4:5] offset:184
	;; [unrolled: 1-line block ×6, first 2 shown]
	ds_load_u16 v55, v29 offset:686
	ds_load_u16 v78, v29 offset:1372
	;; [unrolled: 1-line block ×15, first 2 shown]
	s_wait_loadcnt 0xb
	v_lshrrev_b32_e32 v88, 16, v70
	v_lshrrev_b32_e32 v89, 16, v71
	;; [unrolled: 1-line block ×4, first 2 shown]
	s_wait_dscnt 0xe
	v_mul_f16_e32 v118, v55, v88
	s_wait_dscnt 0xd
	v_mul_f16_e32 v119, v78, v89
	v_mul_f16_e32 v91, v68, v88
	s_wait_dscnt 0xa
	v_mul_f16_e32 v120, v81, v90
	s_wait_dscnt 0x6
	v_mul_f16_e32 v121, v85, v97
	v_fmac_f16_e32 v118, v68, v70
	v_mul_f16_e32 v68, v69, v89
	v_fmac_f16_e32 v119, v69, v71
	v_mul_f16_e32 v69, v66, v90
	v_fma_f16 v55, v55, v70, -v91
	v_mul_f16_e32 v91, v67, v97
	v_fma_f16 v122, v78, v71, -v68
	v_fmac_f16_e32 v120, v66, v72
	v_fma_f16 v66, v81, v72, -v69
	v_fmac_f16_e32 v121, v67, v73
	ds_load_u16 v67, v29 offset:882
	ds_load_u16 v68, v29 offset:980
	;; [unrolled: 1-line block ×4, first 2 shown]
	s_wait_dscnt 0x4
	v_mul_f16_e32 v125, v95, v88
	v_mul_f16_e32 v78, v62, v88
	ds_load_u16 v88, v29 offset:1568
	v_mul_f16_e32 v126, v87, v89
	v_mul_f16_e32 v81, v65, v89
	v_fmac_f16_e32 v125, v62, v70
	v_mul_f16_e64 v128, v80, v90
	v_mul_f16_e32 v62, v64, v90
	v_fmac_f16_e32 v126, v65, v71
	v_mul_f16_e64 v129, v86, v97
	v_fma_f16 v127, v95, v70, -v78
	v_mul_f16_e32 v70, v63, v97
	v_fmac_f16_e64 v128, v64, v72
	v_fma_f16 v72, v80, v72, -v62
	v_fmac_f16_e64 v129, v63, v73
	v_fma_f16 v123, v85, v73, -v91
	v_fma_f16 v73, v86, v73, -v70
	;; [unrolled: 1-line block ×3, first 2 shown]
	s_wait_loadcnt 0xa
	v_lshrrev_b32_e32 v65, 16, v74
	v_lshrrev_b32_e32 v63, 16, v75
	;; [unrolled: 1-line block ×3, first 2 shown]
	s_delay_alu instid0(VALU_DEP_3)
	v_mul_f16_e32 v62, v60, v65
	s_wait_dscnt 0x4
	v_mul_f16_e32 v85, v67, v65
	ds_load_u16 v64, v29 offset:1666
	ds_load_u16 v65, v29 offset:1764
	;; [unrolled: 1-line block ×3, first 2 shown]
	s_wait_dscnt 0x3
	v_mul_f16_e32 v86, v88, v63
	v_mul_f16_e32 v87, v79, v78
	v_fma_f16 v90, v67, v74, -v62
	ds_load_u16 v62, v29 offset:2352
	v_mul_f16_e32 v63, v61, v63
	v_fmac_f16_e32 v85, v60, v74
	v_fmac_f16_e32 v86, v61, v75
	v_mul_f16_e32 v60, v56, v78
	v_lshrrev_b32_e32 v61, 16, v77
	v_fmac_f16_e32 v87, v56, v76
	s_wait_loadcnt 0x9
	v_lshrrev_b32_e32 v56, 16, v49
	v_fma_f16 v89, v88, v75, -v63
	v_fma_f16 v88, v79, v76, -v60
	v_mul_f16_e32 v95, v82, v61
	v_mul_f16_e32 v60, v45, v61
	v_lshrrev_b32_e32 v61, 16, v50
	v_mul_f16_e32 v78, v68, v56
	v_mul_f16_e32 v56, v58, v56
	v_fmac_f16_e32 v95, v45, v77
	v_fma_f16 v97, v82, v77, -v60
	s_wait_dscnt 0x3
	v_mul_f16_e32 v77, v64, v61
	v_fmac_f16_e32 v78, v58, v49
	v_fma_f16 v79, v68, v49, -v56
	ds_load_u16 v56, v29 offset:2450
	ds_load_u16 v67, v29 offset:2548
	v_mul_f16_e32 v45, v59, v61
	v_lshrrev_b32_e32 v49, 16, v51
	v_lshrrev_b32_e32 v58, 16, v52
	v_fmac_f16_e32 v77, v59, v50
	s_delay_alu instid0(VALU_DEP_4)
	v_fma_f16 v91, v64, v50, -v45
	ds_load_u16 v50, v29 offset:3136
	s_wait_dscnt 0x3
	v_mul_f16_e32 v80, v62, v49
	v_mul_f16_e32 v49, v57, v49
	;; [unrolled: 1-line block ×3, first 2 shown]
	s_wait_loadcnt 0x8
	v_lshrrev_b32_e32 v45, 16, v98
	v_fmac_f16_e32 v80, v57, v51
	v_fma_f16 v81, v62, v51, -v49
	v_mul_f16_e32 v49, v42, v58
	v_fmac_f16_e32 v82, v42, v52
	v_lshrrev_b32_e32 v42, 16, v99
	v_mul_f16_e32 v59, v69, v45
	v_mul_f16_e32 v45, v44, v45
	v_fma_f16 v92, v92, v52, -v49
	v_lshrrev_b32_e32 v49, 16, v100
	v_mul_f16_e32 v60, v65, v42
	v_mul_f16_e32 v42, v43, v42
	v_fma_f16 v62, v69, v98, -v45
	ds_load_u16 v51, v29 offset:3626
	ds_load_u16 v52, v29 offset:3724
	;; [unrolled: 1-line block ×7, first 2 shown]
	s_wait_dscnt 0x9
	v_mul_f16_e32 v58, v56, v49
	v_fmac_f16_e32 v60, v43, v99
	v_fma_f16 v61, v65, v99, -v42
	v_lshrrev_b32_e32 v42, 16, v101
	s_wait_loadcnt 0x7
	v_lshrrev_b32_e32 v43, 16, v102
	v_fmac_f16_e32 v59, v44, v98
	v_mul_f16_e32 v44, v41, v49
	v_fmac_f16_e32 v58, v41, v100
	s_wait_dscnt 0x7
	v_mul_f16_e32 v64, v50, v42
	v_mul_f16_e32 v41, v124, v43
	;; [unrolled: 1-line block ×3, first 2 shown]
	v_fma_f16 v63, v56, v100, -v44
	s_wait_loadcnt 0x6
	v_lshrrev_b32_e32 v56, 16, v107
	v_fmac_f16_e32 v64, v40, v101
	v_mul_f16_e32 v40, v39, v43
	v_lshrrev_b32_e32 v43, 16, v103
	v_fmac_f16_e32 v41, v39, v102
	v_lshrrev_b32_e32 v39, 16, v104
	v_fma_f16 v65, v50, v101, -v42
	v_fma_f16 v44, v124, v102, -v40
	v_mul_f16_e32 v42, v70, v43
	v_mul_f16_e32 v43, v35, v43
	v_lshrrev_b32_e32 v50, 16, v105
	v_mul_f16_e32 v40, v67, v39
	v_mul_f16_e32 v39, v36, v39
	v_fmac_f16_e32 v42, v35, v103
	v_fma_f16 v49, v70, v103, -v43
	v_lshrrev_b32_e32 v35, 16, v106
	s_wait_dscnt 0x3
	v_mul_f16_e32 v45, v68, v50
	v_fma_f16 v43, v67, v104, -v39
	v_mul_f16_e32 v39, v34, v50
	v_fmac_f16_e32 v40, v36, v104
	v_mul_f16_e32 v36, v96, v35
	v_mul_f16_e32 v35, v37, v35
	v_fmac_f16_e32 v45, v34, v105
	v_fma_f16 v50, v68, v105, -v39
	v_lshrrev_b32_e32 v39, 16, v108
	v_mul_f16_e32 v34, v110, v56
	v_mul_f16_e32 v56, v38, v56
	ds_load_u16 v67, v29 offset:4116
	v_fmac_f16_e32 v36, v37, v106
	v_fma_f16 v37, v96, v106, -v35
	ds_load_u16 v96, v29 offset:4214
	v_mul_f16_e32 v35, v117, v39
	v_mul_f16_e32 v39, v33, v39
	v_lshrrev_b32_e32 v68, 16, v109
	v_fmac_f16_e32 v34, v38, v107
	v_fma_f16 v38, v110, v107, -v56
	s_wait_loadcnt 0x5
	v_lshrrev_b32_e32 v56, 16, v53
	v_fmac_f16_e32 v35, v33, v108
	v_fma_f16 v33, v117, v108, -v39
	s_wait_dscnt 0x4
	v_mul_f16_e32 v39, v69, v68
	v_mul_f16_e32 v68, v32, v68
	s_wait_dscnt 0x2
	v_mul_f16_e32 v76, v75, v56
	v_mul_f16_e32 v70, v27, v56
	;; [unrolled: 1-line block ×3, first 2 shown]
	v_fmac_f16_e32 v39, v32, v109
	v_fma_f16 v32, v69, v109, -v68
	ds_load_u16 v68, v29 offset:4312
	ds_load_u16 v69, v29 offset:4410
	;; [unrolled: 1-line block ×5, first 2 shown]
	v_fmac_f16_e32 v76, v27, v53
	v_lshrrev_b32_e32 v27, 16, v54
	v_mul_f16_e32 v56, v25, v56
	v_fmac_f16_e32 v106, v25, v53
	s_wait_loadcnt 0x4
	v_lshrrev_b32_e32 v25, 16, v83
	v_fma_f16 v75, v75, v53, -v70
	s_wait_dscnt 0x6
	v_mul_f16_e32 v105, v67, v27
	v_mul_f16_e32 v98, v26, v27
	s_wait_dscnt 0x5
	v_mul_f16_e32 v108, v96, v27
	v_mul_f16_e32 v117, v51, v25
	;; [unrolled: 1-line block ×3, first 2 shown]
	v_fmac_f16_e32 v105, v26, v54
	v_mul_f16_e32 v26, v24, v27
	v_lshrrev_b32_e32 v27, 16, v84
	v_fmac_f16_e32 v108, v24, v54
	v_fmac_f16_e32 v117, v22, v83
	v_fma_f16 v130, v51, v83, -v25
	v_fma_f16 v24, v96, v54, -v26
	s_wait_dscnt 0x4
	v_mul_f16_e32 v124, v68, v27
	v_mul_f16_e32 v22, v23, v27
	s_wait_loadcnt 0x3
	v_lshrrev_b32_e32 v25, 16, v93
	ds_load_u16 v26, v29 offset:3920
	v_fma_f16 v107, v67, v54, -v98
	v_fmac_f16_e32 v124, v23, v84
	v_lshrrev_b32_e32 v23, 16, v94
	v_fma_f16 v131, v68, v84, -v22
	v_mul_f16_e32 v99, v52, v25
	v_mul_f16_e32 v22, v16, v25
	s_wait_loadcnt 0x2
	v_lshrrev_b32_e32 v25, 16, v111
	s_wait_dscnt 0x4
	v_mul_f16_e32 v102, v69, v23
	v_mul_f16_e32 v23, v21, v23
	v_fmac_f16_e32 v99, v16, v93
	v_fma_f16 v100, v52, v93, -v22
	ds_load_u16 v22, v29 offset:4704
	v_fmac_f16_e32 v102, v21, v94
	v_fma_f16 v110, v69, v94, -v23
	v_mul_f16_e32 v94, v57, v25
	v_lshrrev_b32_e32 v16, 16, v112
	v_mul_f16_e32 v21, v13, v25
	s_wait_loadcnt 0x1
	v_lshrrev_b32_e32 v23, 16, v113
	v_fma_f16 v74, v74, v53, -v56
	v_fmac_f16_e32 v94, v13, v111
	v_mul_f16_e32 v13, v17, v16
	s_wait_dscnt 0x4
	v_mul_f16_e32 v98, v101, v16
	s_wait_dscnt 0x1
	v_mul_f16_e32 v67, v26, v23
	v_lshrrev_b32_e32 v16, 16, v114
	v_fma_f16 v96, v57, v111, -v21
	v_fma_f16 v101, v101, v112, -v13
	s_wait_loadcnt 0x0
	v_lshrrev_b32_e32 v13, 16, v115
	v_fmac_f16_e32 v98, v17, v112
	v_mul_f16_e32 v17, v15, v23
	v_fmac_f16_e32 v67, v15, v113
	v_mul_f16_e32 v69, v103, v16
	v_lshrrev_b32_e32 v15, 16, v116
	v_mul_f16_e32 v21, v104, v13
	v_mul_f16_e32 v13, v19, v13
	v_fma_f16 v68, v26, v113, -v17
	v_mul_f16_e32 v16, v14, v16
	v_fmac_f16_e32 v69, v14, v114
	s_wait_dscnt 0x0
	v_mul_f16_e32 v27, v22, v15
	v_mul_f16_e32 v14, v18, v15
	v_fma_f16 v26, v104, v115, -v13
	v_add_f16_e32 v13, v118, v105
	v_add_f16_e32 v17, v119, v76
	v_fmac_f16_e32 v21, v19, v115
	v_fmac_f16_e32 v27, v18, v116
	v_fma_f16 v51, v22, v116, -v14
	v_add_f16_e32 v15, v55, v107
	v_sub_f16_e32 v18, v119, v76
	v_add_f16_e32 v19, v122, v75
	v_sub_f16_e32 v22, v122, v75
	v_add_f16_e32 v23, v120, v121
	v_sub_f16_e32 v25, v121, v120
	v_add_f16_e32 v53, v17, v13
	ds_load_u16 v75, v29
	v_fma_f16 v70, v103, v114, -v16
	v_sub_f16_e32 v14, v118, v105
	v_sub_f16_e32 v16, v55, v107
	v_add_f16_e32 v52, v66, v123
	v_sub_f16_e32 v54, v123, v66
	v_sub_f16_e32 v55, v17, v13
	;; [unrolled: 1-line block ×4, first 2 shown]
	v_add_f16_e32 v23, v23, v53
	v_add_f16_e32 v53, v19, v15
	;; [unrolled: 1-line block ×3, first 2 shown]
	v_sub_f16_e32 v56, v19, v15
	v_sub_f16_e32 v15, v15, v52
	;; [unrolled: 1-line block ×3, first 2 shown]
	v_add_f16_e32 v52, v52, v53
	v_sub_f16_e32 v53, v25, v18
	v_sub_f16_e32 v25, v14, v25
	;; [unrolled: 1-line block ×3, first 2 shown]
	v_add_f16_e32 v14, v57, v14
	v_add_f16_e32 v57, v54, v22
	v_sub_f16_e32 v66, v54, v22
	v_mul_f16_e32 v13, 0x3a52, v13
	v_sub_f16_e32 v54, v16, v54
	v_sub_f16_e32 v22, v22, v16
	v_add_f16_e32 v16, v57, v16
	v_mul_f16_e32 v57, 0x2b26, v17
	v_mul_f16_e32 v15, 0x3a52, v15
	;; [unrolled: 1-line block ×3, first 2 shown]
	v_fmamk_f16 v17, v17, 0x2b26, v13
	v_fma_f16 v13, v55, 0xb9e0, -v13
	v_fma_f16 v57, v55, 0x39e0, -v57
	v_mul_f16_e32 v53, 0x3846, v53
	v_fmamk_f16 v55, v19, 0x2b26, v15
	v_fma_f16 v76, v56, 0x39e0, -v76
	v_fma_f16 v15, v56, 0xb9e0, -v15
	v_mul_f16_e32 v56, 0xbb00, v18
	v_add_f16_e32 v19, v10, v23
	v_mul_f16_e32 v66, 0x3846, v66
	s_wait_dscnt 0x0
	v_add_f16_e32 v10, v75, v52
	v_fma_f16 v18, v18, 0xbb00, -v53
	v_fmamk_f16 v83, v25, 0xb574, v53
	v_mul_f16_e32 v53, 0xbb00, v22
	v_fma_f16 v25, v25, 0x3574, -v56
	v_fmamk_f16 v23, v23, 0xbcab, v19
	v_fma_f16 v22, v22, 0xbb00, -v66
	v_fmamk_f16 v56, v54, 0xb574, v66
	v_fmamk_f16 v52, v52, 0xbcab, v10
	v_fma_f16 v54, v54, 0x3574, -v53
	v_add_f16_e32 v17, v17, v23
	v_add_f16_e32 v53, v57, v23
	v_fmac_f16_e32 v83, 0xb70e, v14
	v_add_f16_e32 v66, v55, v52
	v_add_f16_e32 v55, v76, v52
	v_fmac_f16_e32 v22, 0xb70e, v16
	v_fmac_f16_e32 v18, 0xb70e, v14
	;; [unrolled: 1-line block ×3, first 2 shown]
	v_add_f16_e32 v23, v13, v23
	v_add_f16_e32 v15, v15, v52
	v_fmac_f16_e32 v25, 0xb70e, v14
	v_sub_f16_e32 v52, v53, v22
	v_add_f16_e32 v53, v22, v53
	v_add_f16_e32 v13, v18, v55
	v_sub_f16_e32 v14, v55, v18
	v_add_f16_e32 v57, v56, v17
	v_sub_f16_e32 v56, v17, v56
	v_sub_f16_e32 v18, v66, v83
	v_add_f16_e32 v17, v83, v66
	v_add_f16_e32 v22, v125, v108
	v_add_f16_e32 v66, v126, v106
	v_fmac_f16_e32 v54, 0xb70e, v16
	v_sub_f16_e32 v16, v15, v25
	v_add_f16_e32 v15, v25, v15
	v_add_f16_e32 v25, v127, v24
	v_sub_f16_e32 v75, v126, v106
	v_add_f16_e32 v76, v71, v74
	v_sub_f16_e32 v71, v71, v74
	v_add_f16_e64 v74, v128, v129
	v_sub_f16_e64 v83, v129, v128
	v_add_f16_e32 v105, v66, v22
	ds_load_u16 v84, v29 offset:98
	ds_load_u16 v103, v29 offset:196
	;; [unrolled: 1-line block ×5, first 2 shown]
	v_add_f16_e32 v55, v54, v23
	v_sub_f16_e32 v54, v23, v54
	v_sub_f16_e32 v23, v125, v108
	v_add_f16_e32 v104, v72, v73
	v_sub_f16_e32 v72, v73, v72
	v_sub_f16_e32 v73, v66, v22
	;; [unrolled: 1-line block ×4, first 2 shown]
	v_add_f16_e32 v74, v74, v105
	v_add_f16_e32 v105, v76, v25
	;; [unrolled: 1-line block ×3, first 2 shown]
	v_sub_f16_e32 v24, v127, v24
	v_sub_f16_e32 v106, v76, v25
	;; [unrolled: 1-line block ×4, first 2 shown]
	v_add_f16_e32 v104, v104, v105
	v_sub_f16_e32 v105, v83, v75
	v_sub_f16_e32 v83, v23, v83
	;; [unrolled: 1-line block ×3, first 2 shown]
	v_add_f16_e32 v23, v107, v23
	v_add_f16_e32 v107, v72, v71
	v_mul_f16_e32 v22, 0x3a52, v22
	v_mul_f16_e32 v112, 0x2b26, v66
	v_sub_f16_e32 v108, v72, v71
	v_sub_f16_e32 v72, v24, v72
	;; [unrolled: 1-line block ×3, first 2 shown]
	v_add_f16_e32 v24, v107, v24
	v_fmamk_f16 v107, v66, 0x2b26, v22
	v_mul_f16_e32 v25, 0x3a52, v25
	v_mul_f16_e32 v66, 0x2b26, v76
	v_fma_f16 v112, v73, 0x39e0, -v112
	v_fma_f16 v22, v73, 0xb9e0, -v22
	v_mul_f16_e32 v73, 0x3846, v105
	v_fmamk_f16 v76, v76, 0x2b26, v25
	v_fma_f16 v105, v106, 0x39e0, -v66
	v_fma_f16 v25, v106, 0xb9e0, -v25
	v_mul_f16_e32 v106, 0xbb00, v75
	v_fma_f16 v75, v75, 0xbb00, -v73
	v_fmamk_f16 v113, v83, 0xb574, v73
	v_add_f16_e32 v66, v6, v74
	v_mul_f16_e32 v73, 0x3846, v108
	s_wait_dscnt 0x4
	v_add_f16_e32 v6, v84, v104
	v_mul_f16_e32 v84, 0xbb00, v71
	v_fma_f16 v83, v83, 0x3574, -v106
	v_fmamk_f16 v74, v74, 0xbcab, v66
	v_fma_f16 v106, v71, 0xbb00, -v73
	v_fmamk_f16 v108, v72, 0xb574, v73
	v_fmamk_f16 v71, v104, 0xbcab, v6
	v_fma_f16 v73, v72, 0x3574, -v84
	v_add_f16_e32 v84, v107, v74
	v_add_f16_e32 v72, v112, v74
	;; [unrolled: 1-line block ×4, first 2 shown]
	v_fmac_f16_e32 v106, 0xb70e, v24
	v_fmac_f16_e32 v75, 0xb70e, v23
	;; [unrolled: 1-line block ×3, first 2 shown]
	v_add_f16_e32 v107, v76, v71
	v_add_f16_e32 v76, v25, v71
	v_fmac_f16_e32 v113, 0xb70e, v23
	v_fmac_f16_e32 v83, 0xb70e, v23
	;; [unrolled: 1-line block ×3, first 2 shown]
	v_sub_f16_e32 v71, v72, v106
	v_add_f16_e32 v72, v106, v72
	v_add_f16_e32 v22, v75, v74
	v_sub_f16_e32 v23, v74, v75
	v_add_f16_e32 v74, v73, v104
	v_sub_f16_e32 v73, v104, v73
	v_add_f16_e32 v104, v85, v124
	v_add_f16_e32 v106, v86, v117
	v_sub_f16_e32 v25, v76, v83
	v_add_f16_e32 v24, v83, v76
	v_add_f16_e32 v76, v108, v84
	v_sub_f16_e32 v75, v84, v108
	v_sub_f16_e32 v84, v107, v113
	v_add_f16_e32 v83, v113, v107
	v_add_f16_e64 v105, v90, v131
	v_sub_f16_e32 v86, v86, v117
	v_add_f16_e64 v107, v89, v130
	v_add_f16_e32 v108, v87, v95
	v_sub_f16_e32 v87, v95, v87
	v_add_f16_e32 v112, v106, v104
	v_sub_f16_e32 v85, v85, v124
	v_sub_f16_e64 v89, v89, v130
	v_add_f16_e32 v95, v88, v97
	v_sub_f16_e32 v88, v97, v88
	v_sub_f16_e32 v97, v106, v104
	;; [unrolled: 1-line block ×4, first 2 shown]
	v_add_f16_e32 v108, v108, v112
	v_add_f16_e32 v112, v107, v105
	;; [unrolled: 1-line block ×3, first 2 shown]
	v_sub_f16_e64 v90, v90, v131
	v_sub_f16_e32 v113, v107, v105
	v_sub_f16_e32 v105, v105, v95
	;; [unrolled: 1-line block ×3, first 2 shown]
	v_add_f16_e32 v112, v95, v112
	v_sub_f16_e32 v95, v87, v86
	v_sub_f16_e32 v87, v85, v87
	;; [unrolled: 1-line block ×3, first 2 shown]
	v_add_f16_e32 v85, v114, v85
	v_add_f16_e32 v114, v88, v89
	v_sub_f16_e32 v115, v88, v89
	v_mul_f16_e32 v104, 0x3a52, v104
	v_sub_f16_e32 v88, v90, v88
	v_sub_f16_e32 v89, v89, v90
	v_mul_f16_e32 v116, 0x2b26, v106
	v_add_f16_e32 v90, v114, v90
	v_mul_f16_e32 v105, 0x3a52, v105
	v_mul_f16_e32 v114, 0x2b26, v107
	;; [unrolled: 1-line block ×3, first 2 shown]
	v_fmamk_f16 v106, v106, 0x2b26, v104
	v_fma_f16 v116, v97, 0x39e0, -v116
	v_fma_f16 v97, v97, 0xb9e0, -v104
	v_fmamk_f16 v104, v107, 0x2b26, v105
	v_fma_f16 v107, v113, 0x39e0, -v114
	v_fma_f16 v105, v113, 0xb9e0, -v105
	v_mul_f16_e32 v113, 0xbb00, v86
	v_fma_f16 v86, v86, 0xbb00, -v95
	v_fmamk_f16 v114, v87, 0xb574, v95
	v_add_f16_e32 v95, v4, v108
	v_mul_f16_e32 v115, 0x3846, v115
	s_wait_dscnt 0x3
	v_add_f16_e32 v4, v103, v112
	v_mul_f16_e32 v103, 0xbb00, v89
	v_fma_f16 v87, v87, 0x3574, -v113
	v_fmamk_f16 v108, v108, 0xbcab, v95
	v_fma_f16 v89, v89, 0xbb00, -v115
	v_fmamk_f16 v113, v88, 0xb574, v115
	;; [unrolled: 2-line block ×3, first 2 shown]
	v_add_f16_e32 v115, v106, v108
	v_add_f16_e32 v106, v116, v108
	;; [unrolled: 1-line block ×3, first 2 shown]
	v_fmac_f16_e32 v89, 0xb70e, v90
	v_fmac_f16_e32 v88, 0xb70e, v90
	v_add_f16_e32 v116, v104, v112
	v_add_f16_e32 v108, v105, v112
	;; [unrolled: 1-line block ×3, first 2 shown]
	v_sub_f16_e32 v103, v106, v89
	v_add_f16_e32 v104, v89, v106
	v_add_f16_e32 v106, v88, v97
	v_sub_f16_e32 v105, v97, v88
	v_add_f16_e32 v97, v78, v102
	v_sub_f16_e32 v78, v78, v102
	;; [unrolled: 2-line block ×3, first 2 shown]
	v_add_f16_e32 v110, v77, v99
	v_fmac_f16_e32 v114, 0xb70e, v85
	v_sub_f16_e32 v77, v77, v99
	v_add_f16_e32 v99, v91, v100
	v_sub_f16_e32 v91, v91, v100
	v_add_f16_e32 v100, v80, v82
	;; [unrolled: 2-line block ×3, first 2 shown]
	v_fmac_f16_e32 v86, 0xb70e, v85
	v_fmac_f16_e32 v87, 0xb70e, v85
	;; [unrolled: 1-line block ×3, first 2 shown]
	v_sub_f16_e32 v90, v116, v114
	v_add_f16_e32 v89, v114, v116
	v_add_f16_e32 v82, v81, v92
	v_sub_f16_e32 v81, v92, v81
	v_sub_f16_e32 v92, v110, v97
	;; [unrolled: 1-line block ×4, first 2 shown]
	v_add_f16_e32 v100, v100, v112
	v_add_f16_e32 v112, v99, v102
	v_add_f16_e32 v114, v80, v77
	v_add_f16_e32 v85, v86, v107
	v_sub_f16_e32 v86, v107, v86
	v_sub_f16_e32 v88, v108, v87
	v_add_f16_e32 v87, v87, v108
	v_add_f16_e32 v108, v113, v115
	v_sub_f16_e32 v107, v115, v113
	v_sub_f16_e32 v113, v99, v102
	;; [unrolled: 1-line block ×4, first 2 shown]
	v_add_f16_e32 v82, v82, v112
	v_sub_f16_e32 v112, v80, v77
	v_sub_f16_e32 v80, v78, v80
	;; [unrolled: 1-line block ×3, first 2 shown]
	v_add_f16_e32 v78, v114, v78
	v_add_f16_e32 v114, v81, v91
	v_mul_f16_e32 v97, 0x3a52, v97
	v_mul_f16_e32 v116, 0x2b26, v110
	v_sub_f16_e32 v115, v81, v91
	v_sub_f16_e32 v81, v79, v81
	;; [unrolled: 1-line block ×3, first 2 shown]
	v_add_f16_e32 v79, v114, v79
	v_fmamk_f16 v110, v110, 0x2b26, v97
	v_mul_f16_e32 v102, 0x3a52, v102
	v_mul_f16_e32 v114, 0x2b26, v99
	v_fma_f16 v116, v92, 0x39e0, -v116
	v_fma_f16 v92, v92, 0xb9e0, -v97
	v_mul_f16_e32 v97, 0x3846, v112
	v_fmamk_f16 v99, v99, 0x2b26, v102
	v_fma_f16 v112, v113, 0x39e0, -v114
	v_fma_f16 v102, v113, 0xb9e0, -v102
	v_mul_f16_e32 v113, 0xbb00, v77
	v_fma_f16 v114, v77, 0xbb00, -v97
	v_fmamk_f16 v117, v80, 0xb574, v97
	v_add_f16_e32 v77, v3, v100
	v_mul_f16_e32 v97, 0x3846, v115
	s_wait_dscnt 0x2
	v_add_f16_e32 v3, v111, v82
	v_fma_f16 v80, v80, 0x3574, -v113
	v_mul_f16_e32 v111, 0xbb00, v91
	v_fmamk_f16 v100, v100, 0xbcab, v77
	v_fma_f16 v91, v91, 0xbb00, -v97
	v_fmamk_f16 v113, v81, 0xb574, v97
	v_fmamk_f16 v82, v82, 0xbcab, v3
	v_fma_f16 v81, v81, 0x3574, -v111
	v_add_f16_e32 v110, v110, v100
	v_add_f16_e32 v97, v116, v100
	;; [unrolled: 1-line block ×6, first 2 shown]
	v_fmac_f16_e32 v91, 0xb70e, v79
	v_fmac_f16_e32 v80, 0xb70e, v78
	;; [unrolled: 1-line block ×6, first 2 shown]
	v_sub_f16_e32 v78, v97, v91
	v_add_f16_e32 v79, v91, v97
	v_sub_f16_e32 v99, v82, v80
	v_add_f16_e32 v97, v80, v82
	v_add_f16_e32 v80, v113, v110
	v_sub_f16_e32 v82, v110, v113
	v_add_f16_e32 v110, v59, v98
	v_sub_f16_e32 v59, v59, v98
	;; [unrolled: 2-line block ×3, first 2 shown]
	v_add_f16_e32 v101, v60, v94
	v_add_f16_e32 v112, v81, v100
	v_sub_f16_e32 v81, v100, v81
	v_sub_f16_e32 v102, v111, v117
	v_add_f16_e32 v100, v117, v111
	v_sub_f16_e32 v60, v60, v94
	v_add_f16_e32 v94, v61, v96
	;; [unrolled: 2-line block ×4, first 2 shown]
	v_add_f16_e32 v91, v114, v92
	v_sub_f16_e32 v92, v92, v114
	v_add_f16_e32 v64, v63, v65
	v_sub_f16_e32 v63, v65, v63
	v_sub_f16_e32 v65, v101, v110
	;; [unrolled: 1-line block ×4, first 2 shown]
	v_add_f16_e32 v96, v96, v111
	v_add_f16_e32 v111, v94, v98
	;; [unrolled: 1-line block ×3, first 2 shown]
	v_sub_f16_e32 v113, v94, v98
	v_sub_f16_e32 v98, v98, v64
	;; [unrolled: 1-line block ×3, first 2 shown]
	v_add_f16_e32 v64, v64, v111
	v_sub_f16_e32 v111, v58, v60
	v_sub_f16_e32 v58, v59, v58
	;; [unrolled: 1-line block ×3, first 2 shown]
	v_add_f16_e32 v59, v114, v59
	v_add_f16_e32 v114, v63, v61
	v_sub_f16_e32 v115, v63, v61
	v_mul_f16_e32 v110, 0x3a52, v110
	v_sub_f16_e32 v63, v62, v63
	v_sub_f16_e32 v61, v61, v62
	v_mul_f16_e32 v116, 0x2b26, v101
	v_add_f16_e32 v62, v114, v62
	v_mul_f16_e32 v98, 0x3a52, v98
	v_mul_f16_e32 v114, 0x2b26, v94
	v_fmamk_f16 v101, v101, 0x2b26, v110
	v_fma_f16 v116, v65, 0x39e0, -v116
	v_fma_f16 v65, v65, 0xb9e0, -v110
	v_mul_f16_e32 v110, 0x3846, v111
	v_fmamk_f16 v94, v94, 0x2b26, v98
	v_fma_f16 v111, v113, 0x39e0, -v114
	v_fma_f16 v98, v113, 0xb9e0, -v98
	v_mul_f16_e32 v113, 0xbb00, v60
	v_add_f16_e32 v114, v2, v96
	v_mul_f16_e32 v115, 0x3846, v115
	s_wait_dscnt 0x1
	v_add_f16_e32 v2, v109, v64
	v_fma_f16 v60, v60, 0xbb00, -v110
	v_fmamk_f16 v110, v58, 0xb574, v110
	v_fma_f16 v58, v58, 0x3574, -v113
	v_mul_f16_e32 v109, 0xbb00, v61
	v_fmamk_f16 v96, v96, 0xbcab, v114
	v_fma_f16 v61, v61, 0xbb00, -v115
	v_fmamk_f16 v64, v64, 0xbcab, v2
	v_fmamk_f16 v113, v63, 0xb574, v115
	v_fma_f16 v63, v63, 0x3574, -v109
	v_add_f16_e32 v101, v101, v96
	v_add_f16_e32 v109, v116, v96
	;; [unrolled: 1-line block ×6, first 2 shown]
	v_fmac_f16_e32 v61, 0xb70e, v62
	v_fmac_f16_e32 v58, 0xb70e, v59
	;; [unrolled: 1-line block ×5, first 2 shown]
	v_sub_f16_e32 v59, v109, v61
	v_add_f16_e32 v61, v61, v109
	v_sub_f16_e32 v109, v64, v58
	v_add_f16_e32 v111, v58, v64
	v_add_f16_e32 v64, v41, v69
	v_sub_f16_e32 v41, v41, v69
	v_add_f16_e32 v69, v42, v67
	v_fmac_f16_e32 v113, 0xb70e, v62
	v_add_f16_e32 v98, v60, v96
	v_sub_f16_e32 v96, v96, v60
	v_add_f16_e32 v60, v63, v65
	v_sub_f16_e32 v62, v65, v63
	;; [unrolled: 2-line block ×3, first 2 shown]
	v_sub_f16_e32 v42, v42, v67
	v_add_f16_e32 v67, v49, v68
	v_sub_f16_e32 v49, v49, v68
	v_add_f16_e32 v68, v40, v45
	;; [unrolled: 2-line block ×3, first 2 shown]
	v_add_f16_e32 v58, v113, v101
	v_sub_f16_e32 v63, v101, v113
	v_add_f16_e32 v45, v43, v50
	v_sub_f16_e32 v43, v50, v43
	v_sub_f16_e32 v50, v69, v64
	;; [unrolled: 1-line block ×4, first 2 shown]
	v_add_f16_e32 v68, v68, v70
	v_add_f16_e32 v70, v67, v65
	;; [unrolled: 1-line block ×3, first 2 shown]
	v_sub_f16_e32 v101, v94, v110
	v_add_f16_e32 v94, v110, v94
	v_sub_f16_e32 v110, v67, v65
	v_sub_f16_e32 v65, v65, v45
	;; [unrolled: 1-line block ×3, first 2 shown]
	v_add_f16_e32 v45, v45, v70
	v_sub_f16_e32 v70, v40, v42
	v_sub_f16_e32 v40, v41, v40
	;; [unrolled: 1-line block ×3, first 2 shown]
	v_add_f16_e32 v41, v113, v41
	v_add_f16_e32 v113, v43, v49
	v_sub_f16_e32 v115, v43, v49
	v_mul_f16_e32 v64, 0x3a52, v64
	v_sub_f16_e32 v43, v44, v43
	v_sub_f16_e32 v49, v49, v44
	v_mul_f16_e32 v116, 0x2b26, v69
	v_add_f16_e32 v44, v113, v44
	v_mul_f16_e32 v65, 0x3a52, v65
	v_mul_f16_e32 v113, 0x2b26, v67
	v_fmamk_f16 v69, v69, 0x2b26, v64
	v_fma_f16 v116, v50, 0x39e0, -v116
	v_fma_f16 v50, v50, 0xb9e0, -v64
	v_mul_f16_e32 v64, 0x3846, v70
	v_fmamk_f16 v67, v67, 0x2b26, v65
	v_fma_f16 v70, v110, 0x39e0, -v113
	v_fma_f16 v65, v110, 0xb9e0, -v65
	v_mul_f16_e32 v110, 0xbb00, v42
	v_fma_f16 v42, v42, 0xbb00, -v64
	v_fmamk_f16 v64, v40, 0xb574, v64
	v_add_f16_e32 v1, v1, v68
	v_mul_f16_e32 v113, 0x3846, v115
	v_fma_f16 v40, v40, 0x3574, -v110
	s_wait_dscnt 0x0
	v_add_f16_e32 v93, v93, v45
	v_mul_f16_e32 v110, 0xbb00, v49
	v_fmamk_f16 v68, v68, 0xbcab, v1
	v_fma_f16 v49, v49, 0xbb00, -v113
	v_fmamk_f16 v113, v43, 0xb574, v113
	v_fmamk_f16 v45, v45, 0xbcab, v93
	v_fma_f16 v43, v43, 0x3574, -v110
	v_add_f16_e32 v69, v69, v68
	v_add_f16_e32 v110, v116, v68
	;; [unrolled: 1-line block ×4, first 2 shown]
	v_fmac_f16_e32 v49, 0xb70e, v44
	v_fmac_f16_e32 v42, 0xb70e, v41
	;; [unrolled: 1-line block ×6, first 2 shown]
	v_sub_f16_e32 v41, v110, v49
	v_add_f16_e32 v44, v49, v110
	v_add_f16_e32 v110, v42, v68
	v_sub_f16_e32 v115, v68, v42
	v_add_f16_e32 v42, v43, v50
	v_sub_f16_e32 v43, v50, v43
	v_add_f16_e32 v49, v36, v27
	v_add_f16_e32 v50, v34, v21
	v_sub_f16_e32 v27, v36, v27
	v_add_f16_e32 v36, v37, v51
	v_sub_f16_e32 v37, v37, v51
	v_sub_f16_e32 v21, v34, v21
	v_add_f16_e32 v34, v38, v26
	v_sub_f16_e32 v26, v38, v26
	v_add_f16_e32 v38, v35, v39
	;; [unrolled: 2-line block ×3, first 2 shown]
	v_add_f16_e32 v67, v67, v45
	v_add_f16_e32 v45, v65, v45
	;; [unrolled: 1-line block ×3, first 2 shown]
	v_sub_f16_e32 v32, v32, v33
	v_sub_f16_e32 v33, v50, v49
	;; [unrolled: 1-line block ×4, first 2 shown]
	v_add_f16_e32 v38, v38, v51
	v_add_f16_e32 v51, v34, v36
	;; [unrolled: 1-line block ×3, first 2 shown]
	v_sub_f16_e32 v116, v45, v40
	v_add_f16_e32 v117, v40, v45
	v_add_f16_e32 v40, v113, v69
	v_sub_f16_e32 v45, v69, v113
	v_sub_f16_e32 v113, v67, v64
	v_add_f16_e32 v118, v64, v67
	v_sub_f16_e32 v64, v34, v36
	v_sub_f16_e32 v36, v36, v39
	v_sub_f16_e32 v34, v39, v34
	v_add_f16_e32 v39, v39, v51
	v_sub_f16_e32 v51, v35, v21
	v_sub_f16_e32 v35, v27, v35
	;; [unrolled: 1-line block ×3, first 2 shown]
	v_add_f16_e32 v27, v65, v27
	v_add_f16_e32 v65, v32, v26
	v_sub_f16_e32 v67, v32, v26
	v_mul_f16_e32 v49, 0x3a52, v49
	v_sub_f16_e32 v32, v37, v32
	v_sub_f16_e32 v26, v26, v37
	v_mul_f16_e32 v68, 0x2b26, v50
	v_add_f16_e32 v37, v65, v37
	v_mul_f16_e32 v36, 0x3a52, v36
	v_mul_f16_e32 v65, 0x2b26, v34
	v_fmamk_f16 v50, v50, 0x2b26, v49
	v_fma_f16 v68, v33, 0x39e0, -v68
	v_fma_f16 v33, v33, 0xb9e0, -v49
	v_mul_f16_e32 v49, 0x3846, v51
	v_fmamk_f16 v34, v34, 0x2b26, v36
	v_fma_f16 v51, v64, 0x39e0, -v65
	v_fma_f16 v36, v64, 0xb9e0, -v36
	v_mul_f16_e32 v64, 0xbb00, v21
	v_fma_f16 v21, v21, 0xbb00, -v49
	v_fmamk_f16 v49, v35, 0xb574, v49
	v_add_f16_e32 v0, v0, v38
	v_mul_f16_e32 v65, 0x3846, v67
	v_fma_f16 v35, v35, 0x3574, -v64
	v_add_f16_e32 v20, v20, v39
	v_mul_f16_e32 v64, 0xbb00, v26
	v_fmamk_f16 v38, v38, 0xbcab, v0
	v_fma_f16 v26, v26, 0xbb00, -v65
	v_fmamk_f16 v65, v32, 0xb574, v65
	v_fmamk_f16 v39, v39, 0xbcab, v20
	v_fma_f16 v32, v32, 0x3574, -v64
	v_add_f16_e32 v50, v50, v38
	v_add_f16_e32 v64, v68, v38
	;; [unrolled: 1-line block ×4, first 2 shown]
	v_fmac_f16_e32 v26, 0xb70e, v37
	v_fmac_f16_e32 v35, 0xb70e, v27
	;; [unrolled: 1-line block ×4, first 2 shown]
	v_add_f16_e32 v34, v34, v39
	v_add_f16_e32 v38, v51, v39
	v_fmac_f16_e32 v49, 0xb70e, v27
	v_fmac_f16_e32 v21, 0xb70e, v27
	v_sub_f16_e32 v27, v64, v26
	v_add_f16_e32 v37, v32, v33
	v_sub_f16_e32 v32, v33, v32
	v_sub_f16_e32 v120, v36, v35
	v_add_f16_e32 v121, v35, v36
	v_add_f16_e32 v33, v65, v50
	v_sub_f16_e32 v35, v50, v65
	v_add_f16_e32 v26, v26, v64
	v_add_f16_e32 v119, v21, v38
	v_sub_f16_e32 v21, v38, v21
	v_sub_f16_e32 v122, v34, v49
	v_add_f16_e32 v123, v49, v34
	global_wb scope:SCOPE_SE
	s_barrier_signal -1
	s_barrier_wait -1
	global_inv scope:SCOPE_SE
	ds_store_b16 v29, v19
	ds_store_b16 v29, v57 offset:98
	ds_store_b16 v29, v55 offset:196
	;; [unrolled: 1-line block ×48, first 2 shown]
	global_wb scope:SCOPE_SE
	s_wait_dscnt 0x0
	s_barrier_signal -1
	s_barrier_wait -1
	global_inv scope:SCOPE_SE
	ds_load_u16 v49, v29 offset:2254
	ds_load_u16 v50, v29 offset:2940
	;; [unrolled: 1-line block ×6, first 2 shown]
	ds_load_u16 v27, v29
	ds_load_u16 v38, v29 offset:98
	ds_load_u16 v45, v29 offset:196
	;; [unrolled: 1-line block ×42, first 2 shown]
	global_wb scope:SCOPE_SE
	s_wait_dscnt 0x0
	s_barrier_signal -1
	s_barrier_wait -1
	global_inv scope:SCOPE_SE
	ds_store_b16 v29, v10
	ds_store_b16 v29, v18 offset:98
	ds_store_b16 v29, v16 offset:196
	;; [unrolled: 1-line block ×48, first 2 shown]
	global_wb scope:SCOPE_SE
	s_wait_dscnt 0x0
	s_barrier_signal -1
	s_barrier_wait -1
	global_inv scope:SCOPE_SE
	s_and_saveexec_b32 s0, vcc_lo
	s_cbranch_execz .LBB0_13
; %bb.12:
	v_mul_u32_u24_e32 v0, 6, v48
	v_mad_u32_u24 v15, v48, 6, 0xfffffeda
	v_mov_b32_e32 v16, 0
	v_add_co_u32 v17, s0, s4, v12
	s_delay_alu instid0(VALU_DEP_4)
	v_lshlrev_b32_e32 v0, 2, v0
	s_wait_alu 0xf1fe
	v_add_co_ci_u32_e64 v18, null, s5, 0, s0
	s_clause 0x1
	global_load_b128 v[4:7], v0, s[4:5] offset:1344
	global_load_b64 v[21:22], v0, s[4:5] offset:1360
	v_lshlrev_b64_e32 v[0:1], 2, v[15:16]
	v_mad_u32_u24 v15, v48, 6, 0xfffffdb4
	s_delay_alu instid0(VALU_DEP_2) | instskip(SKIP_1) | instid1(VALU_DEP_3)
	v_add_co_u32 v8, vcc_lo, s4, v0
	s_wait_alu 0xfffd
	v_add_co_ci_u32_e32 v9, vcc_lo, s5, v1, vcc_lo
	s_clause 0x1
	global_load_b128 v[0:3], v[8:9], off offset:1344
	global_load_b64 v[19:20], v[8:9], off offset:1360
	v_lshlrev_b64_e32 v[8:9], 2, v[15:16]
	v_mad_u32_u24 v15, v48, 6, 0xfffffc8e
	s_delay_alu instid0(VALU_DEP_2) | instskip(SKIP_1) | instid1(VALU_DEP_3)
	v_add_co_u32 v13, vcc_lo, s4, v8
	s_wait_alu 0xfffd
	v_add_co_ci_u32_e32 v14, vcc_lo, s5, v9, vcc_lo
	s_clause 0x1
	global_load_b128 v[8:11], v[13:14], off offset:1344
	global_load_b64 v[23:24], v[13:14], off offset:1360
	v_lshlrev_b64_e32 v[12:13], 2, v[15:16]
	v_mad_u32_u24 v15, v48, 6, 0xfffffb68
	ds_load_u16 v94, v29 offset:1274
	ds_load_u16 v95, v29 offset:4704
	ds_load_u16 v93, v29 offset:4606
	ds_load_u16 v92, v29 offset:4508
	ds_load_u16 v83, v29 offset:4410
	ds_load_u16 v84, v29 offset:4312
	ds_load_u16 v86, v29 offset:4214
	ds_load_u16 v85, v29 offset:4116
	ds_load_u16 v116, v29 offset:4018
	ds_load_u16 v117, v29 offset:3920
	ds_load_u16 v118, v29 offset:3822
	ds_load_u16 v119, v29 offset:3724
	ds_load_u16 v100, v29 offset:3626
	ds_load_u16 v96, v29 offset:3528
	ds_load_u16 v87, v29 offset:3430
	ds_load_u16 v120, v29 offset:3332
	ds_load_u16 v121, v29 offset:3234
	ds_load_u16 v122, v29 offset:3136
	ds_load_u16 v123, v29 offset:3038
	ds_load_u16 v101, v29 offset:2940
	ds_load_u16 v97, v29 offset:2842
	ds_load_u16 v88, v29 offset:2744
	ds_load_u16 v124, v29 offset:2646
	ds_load_u16 v125, v29 offset:2548
	ds_load_u16 v126, v29 offset:2450
	ds_load_u16 v127, v29 offset:2352
	ds_load_u16 v128, v29 offset:2254
	ds_load_u16 v98, v29 offset:2156
	ds_load_u16 v89, v29 offset:2058
	ds_load_u16 v129, v29 offset:1960
	ds_load_u16 v130, v29 offset:1862
	ds_load_u16 v131, v29 offset:1764
	ds_load_u16 v132, v29 offset:1666
	ds_load_u16 v90, v29 offset:686
	ds_load_u16 v133, v29 offset:588
	ds_load_u16 v134, v29 offset:490
	ds_load_u16 v135, v29 offset:392
	ds_load_u16 v136, v29 offset:294
	ds_load_u16 v99, v29 offset:1470
	ds_load_u16 v91, v29 offset:1372
	v_lshlrev_b64_e32 v[25:26], 2, v[15:16]
	v_mad_u32_u24 v15, v48, 6, 0xfffffa42
	v_add_co_u32 v12, vcc_lo, s4, v12
	s_wait_alu 0xfffd
	v_add_co_ci_u32_e32 v13, vcc_lo, s5, v13, vcc_lo
	s_delay_alu instid0(VALU_DEP_3) | instskip(SKIP_3) | instid1(VALU_DEP_3)
	v_lshlrev_b64_e32 v[14:15], 2, v[15:16]
	v_add_co_u32 v25, vcc_lo, s4, v25
	s_wait_alu 0xfffd
	v_add_co_ci_u32_e32 v26, vcc_lo, s5, v26, vcc_lo
	v_add_co_u32 v110, vcc_lo, s4, v14
	s_wait_alu 0xfffd
	v_add_co_ci_u32_e32 v111, vcc_lo, s5, v15, vcc_lo
	s_clause 0x5
	global_load_b128 v[102:105], v[12:13], off offset:1344
	global_load_b64 v[112:113], v[12:13], off offset:1360
	global_load_b128 v[106:109], v[25:26], off offset:1344
	global_load_b64 v[114:115], v[25:26], off offset:1360
	;; [unrolled: 2-line block ×3, first 2 shown]
	ds_load_u16 v141, v29 offset:1176
	s_wait_loadcnt 0xb
	v_lshrrev_b32_e32 v111, 16, v5
	v_lshrrev_b32_e32 v110, 16, v4
	;; [unrolled: 1-line block ×3, first 2 shown]
	s_wait_loadcnt 0xa
	v_lshrrev_b32_e32 v138, 16, v22
	v_lshrrev_b32_e32 v139, 16, v7
	s_wait_dscnt 0xb
	v_mul_f16_e64 v146, v111, v129
	v_mul_f16_e32 v111, v77, v111
	v_lshrrev_b32_e32 v140, 16, v21
	v_mul_f16_e64 v142, v110, v94
	v_mul_f16_e64 v143, v138, v95
	v_fmac_f16_e64 v146, v77, v5
	ds_load_u16 v77, v29 offset:1078
	v_mul_f16_e64 v144, v139, v120
	v_mul_f16_e64 v145, v137, v124
	;; [unrolled: 1-line block ×4, first 2 shown]
	v_mul_f16_e32 v110, v78, v110
	v_mul_f16_e64 v137, v79, v137
	v_mul_f16_e64 v139, v80, v139
	;; [unrolled: 1-line block ×3, first 2 shown]
	s_wait_loadcnt 0x9
	v_lshrrev_b32_e32 v148, 16, v0
	v_lshrrev_b32_e32 v149, 16, v1
	;; [unrolled: 1-line block ×4, first 2 shown]
	s_wait_loadcnt 0x8
	v_lshrrev_b32_e32 v152, 16, v19
	v_lshrrev_b32_e32 v153, 16, v20
	v_fmac_f16_e64 v142, v78, v4
	v_fmac_f16_e64 v143, v82, v22
	;; [unrolled: 1-line block ×5, first 2 shown]
	v_fma_f16 v22, v22, v95, -v138
	v_fma_f16 v4, v4, v94, -v110
	v_fma_f16 v6, v6, v124, -v137
	v_fma_f16 v7, v7, v120, -v139
	v_fma_f16 v21, v21, v116, -v140
	v_fma_f16 v5, v5, v129, -v111
	s_wait_dscnt 0x1
	v_mul_f16_e64 v78, v148, v141
	v_mul_f16_e64 v79, v153, v93
	;; [unrolled: 1-line block ×12, first 2 shown]
	s_wait_loadcnt 0x7
	v_lshrrev_b32_e32 v129, 16, v8
	v_lshrrev_b32_e32 v137, 16, v9
	;; [unrolled: 1-line block ×4, first 2 shown]
	s_wait_loadcnt 0x6
	v_lshrrev_b32_e32 v140, 16, v23
	v_lshrrev_b32_e32 v148, 16, v24
	v_sub_f16_e64 v149, v142, v143
	v_sub_f16_e64 v150, v144, v145
	;; [unrolled: 1-line block ×3, first 2 shown]
	v_add_f16_e64 v152, v4, v22
	v_add_f16_e64 v153, v7, v6
	;; [unrolled: 1-line block ×6, first 2 shown]
	v_sub_f16_e32 v4, v4, v22
	v_sub_f16_e32 v6, v7, v6
	;; [unrolled: 1-line block ×3, first 2 shown]
	v_fmac_f16_e32 v78, v71, v0
	v_fmac_f16_e32 v79, v76, v20
	;; [unrolled: 1-line block ×6, first 2 shown]
	v_fma_f16 v7, v20, v93, -v95
	v_fma_f16 v0, v0, v141, -v110
	v_fma_f16 v2, v2, v125, -v111
	v_fma_f16 v3, v3, v121, -v116
	ds_load_u16 v116, v29 offset:980
	v_fma_f16 v19, v19, v117, -v120
	v_fma_f16 v1, v1, v130, -v124
	s_wait_dscnt 0x1
	v_mul_f16_e64 v20, v129, v77
	v_mul_f16_e64 v22, v139, v122
	;; [unrolled: 1-line block ×12, first 2 shown]
	v_sub_f16_e64 v111, v149, v150
	v_sub_f16_e64 v117, v150, v151
	v_add_f16_e64 v120, v150, v151
	v_sub_f16_e64 v121, v152, v153
	v_sub_f16_e64 v124, v153, v154
	v_add_f16_e64 v125, v152, v154
	;; [unrolled: 3-line block ×3, first 2 shown]
	v_sub_f16_e64 v138, v4, v6
	v_sub_f16_e64 v139, v6, v5
	v_add_f16_e32 v6, v6, v5
	v_sub_f16_e64 v140, v151, v149
	v_sub_f16_e64 v142, v144, v142
	v_sub_f16_e32 v5, v5, v4
	v_sub_f16_e64 v144, v78, v79
	v_sub_f16_e64 v145, v80, v81
	;; [unrolled: 1-line block ×3, first 2 shown]
	v_add_f16_e64 v147, v0, v7
	v_add_f16_e64 v148, v3, v2
	;; [unrolled: 1-line block ×3, first 2 shown]
	v_add_f16_e32 v78, v78, v79
	v_add_f16_e32 v79, v80, v81
	;; [unrolled: 1-line block ×3, first 2 shown]
	v_sub_f16_e32 v7, v0, v7
	v_sub_f16_e32 v0, v3, v2
	;; [unrolled: 1-line block ×3, first 2 shown]
	v_fmac_f16_e32 v20, v66, v8
	v_fmac_f16_e32 v22, v69, v11
	;; [unrolled: 1-line block ×5, first 2 shown]
	v_fma_f16 v2, v24, v92, -v74
	v_fma_f16 v3, v8, v77, -v75
	;; [unrolled: 1-line block ×6, first 2 shown]
	v_sub_f16_e64 v141, v154, v152
	v_fmac_f16_e32 v21, v70, v24
	v_mul_f16_e32 v19, 0x3846, v117
	v_mul_f16_e32 v24, 0x3a52, v121
	;; [unrolled: 1-line block ×3, first 2 shown]
	v_add_f16_e64 v66, v153, v125
	v_mul_f16_e64 v67, 0x3a52, v129
	v_mul_f16_e64 v68, 0x2b26, v130
	v_add_f16_e64 v69, v143, v137
	v_mul_f16_e64 v70, 0x3846, v139
	v_add_f16_e32 v4, v4, v6
	v_mul_f16_e64 v6, 0xbb00, v140
	v_mul_f16_e32 v74, 0xbb00, v5
	v_sub_f16_e64 v76, v145, v146
	v_add_f16_e64 v77, v145, v146
	v_sub_f16_e64 v82, v148, v150
	v_add_f16_e64 v92, v147, v150
	v_sub_f16_e32 v94, v79, v80
	v_add_f16_e32 v95, v78, v80
	v_sub_f16_e32 v117, v0, v1
	v_add_f16_e32 v118, v0, v1
	v_sub_f16_e32 v125, v22, v71
	v_sub_f16_e32 v126, v72, v73
	v_add_f16_e64 v130, v3, v2
	v_add_f16_e64 v137, v9, v11
	;; [unrolled: 1-line block ×3, first 2 shown]
	v_sub_f16_e64 v81, v147, v148
	v_sub_f16_e32 v93, v78, v79
	v_sub_f16_e32 v110, v7, v0
	v_sub_f16_e64 v120, v146, v144
	v_sub_f16_e64 v122, v150, v147
	v_sub_f16_e32 v78, v80, v78
	v_sub_f16_e32 v80, v1, v7
	v_sub_f16_e32 v124, v20, v21
	v_add_f16_e64 v131, v10, v8
	v_add_f16_e64 v139, v20, v21
	v_add_f16_e32 v20, v22, v71
	v_add_f16_e64 v143, v72, v73
	v_sub_f16_e64 v146, v10, v8
	v_sub_f16_e64 v147, v9, v11
	v_fmamk_f16 v21, v111, 0xb574, v19
	v_fmamk_f16 v8, v121, 0x3a52, v65
	v_add_f16_e64 v0, v133, v66
	v_fma_f16 v9, 0x3a52, v129, v68
	v_add_f16_e32 v1, v64, v69
	v_fma_f16 v64, v111, 0x3574, -v6
	v_fma_f16 v6, v141, 0xb9e0, -v24
	v_fma_f16 v10, v142, 0xb9e0, -v67
	v_fma_f16 v24, v138, 0x3574, -v74
	v_fma_f16 v11, v141, 0x39e0, -v65
	v_fma_f16 v19, v140, 0xbb00, -v19
	v_fma_f16 v65, v5, 0xbb00, -v70
	v_fma_f16 v5, v142, 0x39e0, -v68
	v_mul_f16_e32 v67, 0x3846, v76
	v_add_f16_e64 v68, v144, v77
	v_mul_f16_e32 v71, 0x2b26, v82
	v_add_f16_e64 v72, v148, v92
	v_mul_f16_e32 v74, 0x2b26, v94
	v_add_f16_e32 v76, v79, v95
	v_mul_f16_e32 v77, 0x3846, v117
	v_add_f16_e32 v7, v7, v118
	v_add_f16_e32 v95, v125, v126
	v_add_f16_e64 v118, v130, v137
	v_sub_f16_e64 v75, v144, v145
	v_sub_f16_e64 v145, v3, v2
	v_fma_f16 v22, 0xb574, v138, v70
	v_mul_f16_e32 v70, 0x3a52, v81
	v_mul_f16_e32 v73, 0x3a52, v93
	;; [unrolled: 1-line block ×4, first 2 shown]
	v_sub_f16_e32 v92, v124, v125
	v_sub_f16_e32 v94, v125, v126
	v_sub_f16_e64 v117, v131, v137
	v_sub_f16_e64 v125, v20, v143
	v_add_f16_e64 v129, v139, v143
	v_fmac_f16_e32 v21, 0xb70e, v23
	v_fmamk_f16 v66, v66, 0xbcab, v0
	v_fmamk_f16 v69, v69, 0xbcab, v1
	v_fmac_f16_e32 v64, 0xb70e, v23
	v_fmac_f16_e32 v19, 0xb70e, v23
	v_fmamk_f16 v23, v81, 0x3a52, v71
	v_add_f16_e64 v2, v134, v72
	v_fmamk_f16 v81, v93, 0x3a52, v74
	v_add_f16_e32 v3, v63, v76
	v_fmamk_f16 v93, v110, 0xb574, v77
	v_fma_f16 v77, v80, 0xbb00, -v77
	v_add_f16_e32 v80, v124, v95
	v_add_f16_e64 v95, v131, v118
	v_sub_f16_e64 v111, v130, v131
	v_sub_f16_e64 v121, v139, v20
	v_sub_f16_e32 v126, v126, v124
	v_fma_f16 v140, 0xb574, v75, v67
	v_fma_f16 v75, v75, 0x3574, -v79
	v_fma_f16 v63, v122, 0xb9e0, -v70
	;; [unrolled: 1-line block ×6, first 2 shown]
	v_mul_f16_e32 v78, 0x3846, v94
	v_mul_f16_e32 v94, 0x2b26, v117
	;; [unrolled: 1-line block ×3, first 2 shown]
	v_add_f16_e64 v118, v20, v129
	v_add_f16_e32 v122, v8, v66
	v_add_f16_e32 v124, v9, v69
	;; [unrolled: 1-line block ×6, first 2 shown]
	v_fmamk_f16 v66, v72, 0xbcab, v2
	v_fmamk_f16 v69, v76, 0xbcab, v3
	v_add_f16_e64 v72, v135, v95
	v_fmac_f16_e32 v22, 0xb70e, v4
	v_fmac_f16_e32 v24, 0xb70e, v4
	;; [unrolled: 1-line block ×3, first 2 shown]
	v_fma_f16 v79, v110, 0x3574, -v82
	v_fmac_f16_e64 v140, 0xb70e, v68
	v_fmac_f16_e32 v75, 0xb70e, v68
	v_fmac_f16_e32 v67, 0xb70e, v68
	;; [unrolled: 1-line block ×3, first 2 shown]
	v_fmamk_f16 v76, v111, 0x3a52, v94
	v_add_f16_e32 v4, v21, v122
	v_sub_f16_e32 v21, v122, v21
	v_add_f16_e32 v122, v23, v66
	v_add_f16_e32 v81, v81, v69
	;; [unrolled: 1-line block ×6, first 2 shown]
	v_fmamk_f16 v95, v95, 0xbcab, v72
	v_mul_f16_e32 v82, 0x3a52, v111
	v_fmac_f16_e32 v93, 0xb70e, v7
	v_fmac_f16_e32 v79, 0xb70e, v7
	v_sub_f16_e32 v5, v124, v22
	v_add_f16_e32 v6, v64, v20
	v_sub_f16_e32 v8, v10, v19
	v_add_f16_e32 v9, v65, v11
	v_add_f16_e32 v10, v19, v10
	v_sub_f16_e32 v11, v11, v65
	v_sub_f16_e32 v19, v20, v64
	v_add_f16_e32 v22, v22, v124
	v_sub_f16_e32 v64, v66, v67
	v_add_f16_e32 v65, v77, v69
	v_add_f16_e32 v66, v67, v66
	v_sub_f16_e32 v67, v69, v77
	v_add_f16_e32 v124, v76, v95
	v_mul_f16_e32 v76, 0xbb00, v126
	v_sub_f16_e64 v77, v137, v130
	ds_load_u16 v137, v29 offset:882
	v_sub_f16_e64 v138, v146, v147
	v_add_f16_e32 v73, v62, v118
	v_sub_f16_e32 v7, v125, v24
	v_add_f16_e32 v20, v24, v125
	v_add_f16_e64 v23, v140, v122
	v_sub_f16_e32 v24, v81, v93
	v_sub_f16_e32 v63, v70, v79
	v_add_f16_e32 v69, v79, v70
	v_sub_f16_e64 v70, v122, v140
	v_add_f16_e32 v71, v93, v81
	v_sub_f16_e64 v93, v147, v145
	v_fma_f16 v122, v92, 0x3574, -v76
	v_fma_f16 v76, v77, 0xb9e0, -v82
	v_sub_f16_e64 v133, v145, v146
	v_mul_f16_e32 v110, 0x3a52, v121
	v_mul_f16_e64 v120, 0x3846, v138
	v_fma_f16 v129, 0xb574, v92, v78
	v_fmamk_f16 v111, v121, 0x3a52, v117
	v_fmamk_f16 v118, v118, 0xbcab, v73
	v_sub_f16_e64 v79, v143, v139
	v_mul_f16_e32 v92, 0xbb00, v93
	v_add_f16_e32 v125, v76, v95
	v_fma_f16 v76, v77, 0x39e0, -v94
	v_fma_f16 v121, 0xb574, v133, v120
	v_add_f16_e32 v81, v111, v118
	v_fma_f16 v82, v79, 0xb9e0, -v110
	v_fma_f16 v130, v133, 0x3574, -v92
	v_fma_f16 v120, v93, 0xbb00, -v120
	v_fma_f16 v77, v79, 0x39e0, -v117
	v_add_f16_e32 v117, v76, v95
	s_clause 0x1
	global_load_b128 v[92:95], v[17:18], off offset:1344
	global_load_b64 v[110:111], v[17:18], off offset:1360
	v_add_f16_e32 v62, v75, v68
	v_sub_f16_e32 v68, v68, v75
	v_add_f16_e64 v75, v146, v147
	v_fma_f16 v126, v126, 0xbb00, -v78
	v_fmac_f16_e64 v129, 0xb70e, v80
	v_fmac_f16_e32 v122, 0xb70e, v80
	v_add_f16_e32 v82, v82, v118
	v_add_f16_e64 v75, v145, v75
	v_fmac_f16_e32 v126, 0xb70e, v80
	v_add_f16_e32 v80, v77, v118
	s_wait_loadcnt 0x7
	v_lshrrev_b32_e32 v118, 16, v102
	v_lshrrev_b32_e32 v131, 16, v103
	;; [unrolled: 1-line block ×4, first 2 shown]
	s_wait_loadcnt 0x6
	v_lshrrev_b32_e32 v139, 16, v112
	v_fmac_f16_e32 v120, 0xb70e, v75
	v_lshrrev_b32_e32 v134, 16, v113
	s_wait_dscnt 0x1
	v_mul_f16_e64 v138, v118, v116
	v_mul_f16_e64 v141, v135, v123
	;; [unrolled: 1-line block ×5, first 2 shown]
	v_fmac_f16_e32 v121, 0xb70e, v75
	v_fmac_f16_e64 v130, 0xb70e, v75
	v_add_f16_e32 v75, v122, v125
	v_add_f16_e32 v78, v120, v80
	v_mul_f16_e64 v140, v134, v83
	v_fmac_f16_e64 v141, v56, v105
	v_fmac_f16_e64 v142, v60, v104
	;; [unrolled: 1-line block ×5, first 2 shown]
	v_sub_f16_e32 v18, v80, v120
	v_sub_f16_e32 v80, v125, v122
	v_mul_f16_e64 v122, v61, v134
	v_mul_f16_e32 v58, v58, v118
	v_mul_f16_e64 v57, v57, v139
	v_mul_f16_e64 v59, v59, v131
	v_fmac_f16_e64 v140, v61, v113
	v_sub_f16_e64 v146, v141, v142
	v_sub_f16_e64 v147, v144, v145
	v_fma_f16 v83, v113, v83, -v122
	v_fma_f16 v58, v102, v116, -v58
	v_mul_f16_e64 v60, v60, v133
	v_mul_f16_e64 v56, v56, v135
	v_fma_f16 v102, v112, v119, -v57
	v_fma_f16 v103, v103, v132, -v59
	v_sub_f16_e32 v77, v117, v126
	v_add_f16_e32 v17, v126, v117
	v_sub_f16_e64 v117, v138, v140
	v_add_f16_e64 v57, v146, v147
	v_fma_f16 v60, v104, v127, -v60
	v_fma_f16 v104, v105, v123, -v56
	v_add_f16_e32 v105, v58, v83
	v_add_f16_e32 v112, v103, v102
	v_sub_f16_e32 v79, v81, v121
	v_add_f16_e32 v116, v117, v57
	v_add_f16_e32 v59, v104, v60
	;; [unrolled: 1-line block ×4, first 2 shown]
	v_add_f16_e64 v121, v138, v140
	v_add_f16_e64 v122, v144, v145
	;; [unrolled: 1-line block ×3, first 2 shown]
	v_sub_f16_e64 v120, v146, v147
	v_sub_f16_e64 v56, v124, v129
	v_sub_f16_e32 v81, v59, v112
	v_add_f16_e32 v119, v59, v119
	v_add_f16_e64 v124, v141, v142
	v_add_f16_e32 v125, v121, v122
	v_sub_f16_e64 v76, v82, v130
	v_add_f16_e64 v61, v130, v82
	v_sub_f16_e64 v82, v117, v146
	v_mul_f16_e32 v118, 0x3846, v120
	v_sub_f16_e32 v120, v105, v59
	v_mul_f16_e32 v81, 0x2b26, v81
	v_add_f16_e64 v59, v136, v119
	v_sub_f16_e32 v127, v124, v122
	v_add_f16_e32 v125, v124, v125
	v_sub_f16_e32 v60, v104, v60
	v_sub_f16_e32 v102, v103, v102
	v_sub_f16_e32 v58, v58, v83
	v_sub_f16_e64 v117, v147, v117
	ds_load_u16 v143, v29 offset:1568
	v_mul_f16_e32 v126, 0x3a52, v120
	v_fmamk_f16 v120, v120, 0x3a52, v81
	v_fmamk_f16 v119, v119, 0xbcab, v59
	v_sub_f16_e32 v103, v121, v124
	v_mul_f16_e32 v104, 0x2b26, v127
	v_add_f16_e32 v124, v55, v125
	v_sub_f16_e32 v55, v60, v102
	v_sub_f16_e32 v127, v58, v60
	v_add_f16_e32 v60, v60, v102
	v_mul_f16_e64 v131, 0xbb00, v117
	v_sub_f16_e32 v105, v112, v105
	v_fmamk_f16 v113, v82, 0xb574, v118
	v_add_f16_e32 v83, v120, v119
	v_fmamk_f16 v120, v103, 0x3a52, v104
	v_mul_f16_e64 v129, 0x3846, v55
	v_mul_f16_e32 v103, 0x3a52, v103
	v_sub_f16_e32 v112, v122, v121
	v_sub_f16_e32 v102, v102, v58
	v_add_f16_e32 v58, v58, v60
	v_fma_f16 v82, v82, 0x3574, -v131
	v_fma_f16 v60, v105, 0xb9e0, -v126
	v_fmamk_f16 v125, v125, 0xbcab, v124
	v_fma_f16 v103, v112, 0xb9e0, -v103
	v_mul_f16_e32 v121, 0xbb00, v102
	v_fmac_f16_e32 v82, 0xb70e, v116
	v_add_f16_e32 v122, v60, v119
	v_fma_f16 v60, v105, 0x39e0, -v81
	v_fma_f16 v105, v117, 0xbb00, -v118
	;; [unrolled: 1-line block ×4, first 2 shown]
	v_add_f16_e32 v120, v120, v125
	v_fma_f16 v130, 0xb574, v127, v129
	v_add_f16_e32 v103, v103, v125
	v_fma_f16 v121, v127, 0x3574, -v121
	v_add_f16_e32 v104, v60, v119
	v_fmac_f16_e32 v105, 0xb70e, v116
	v_fmac_f16_e32 v102, 0xb70e, v58
	v_add_f16_e32 v112, v81, v125
	v_add_f16_e32 v60, v82, v122
	s_wait_loadcnt 0x5
	v_lshrrev_b32_e32 v118, 16, v106
	v_sub_f16_e32 v82, v122, v82
	v_lshrrev_b32_e32 v119, 16, v107
	s_wait_loadcnt 0x4
	v_lshrrev_b32_e32 v122, 16, v115
	v_lshrrev_b32_e32 v125, 16, v109
	;; [unrolled: 1-line block ×4, first 2 shown]
	v_fmac_f16_e32 v113, 0xb70e, v116
	ds_load_u16 v123, v29 offset:196
	v_sub_f16_e32 v116, v104, v105
	v_add_f16_e32 v117, v102, v112
	v_add_f16_e32 v104, v105, v104
	ds_load_u16 v105, v29 offset:784
	v_sub_f16_e32 v102, v112, v102
	s_wait_dscnt 0x3
	v_mul_f16_e64 v112, v118, v137
	v_mul_f16_e64 v129, v122, v84
	;; [unrolled: 1-line block ×4, first 2 shown]
	s_wait_dscnt 0x2
	v_mul_f16_e64 v133, v119, v143
	v_mul_f16_e64 v134, v127, v100
	v_fmac_f16_e32 v112, v52, v106
	v_fmac_f16_e64 v129, v54, v115
	v_fmac_f16_e64 v131, v50, v109
	;; [unrolled: 1-line block ×5, first 2 shown]
	v_mul_f16_e32 v54, v54, v122
	v_mul_f16_e32 v52, v52, v118
	;; [unrolled: 1-line block ×6, first 2 shown]
	v_fmac_f16_e32 v121, 0xb70e, v58
	v_fma_f16 v54, v115, v84, -v54
	v_fma_f16 v52, v106, v137, -v52
	v_fma_f16 v51, v114, v100, -v51
	v_fma_f16 v53, v107, v143, -v53
	v_fma_f16 v49, v108, v128, -v49
	v_fma_f16 v50, v109, v101, -v50
	v_sub_f16_e32 v81, v103, v121
	v_sub_f16_e64 v122, v112, v129
	v_add_f16_e32 v100, v52, v54
	v_add_f16_e32 v101, v53, v51
	;; [unrolled: 1-line block ×4, first 2 shown]
	v_add_f16_e64 v112, v112, v129
	v_add_f16_e64 v121, v133, v134
	v_add_f16_e32 v55, v113, v83
	v_sub_f16_e64 v135, v131, v132
	v_sub_f16_e64 v118, v133, v134
	v_add_f16_e32 v108, v100, v101
	v_sub_f16_e32 v83, v83, v113
	v_sub_f16_e32 v113, v107, v101
	v_add_f16_e64 v125, v131, v132
	v_add_f16_e32 v126, v112, v121
	v_fmac_f16_e64 v130, 0xb70e, v58
	v_sub_f16_e64 v84, v135, v118
	v_add_f16_e32 v108, v107, v108
	v_add_f16_e64 v115, v135, v118
	v_sub_f16_e32 v107, v100, v107
	v_mul_f16_e32 v113, 0x2b26, v113
	v_sub_f16_e32 v127, v125, v121
	v_add_f16_e32 v126, v125, v126
	v_sub_f16_e32 v49, v50, v49
	v_sub_f16_e32 v50, v53, v51
	;; [unrolled: 1-line block ×4, first 2 shown]
	v_sub_f16_e64 v58, v120, v130
	v_sub_f16_e64 v106, v122, v135
	v_mul_f16_e32 v84, 0x3846, v84
	v_add_f16_e64 v109, v130, v120
	ds_load_u16 v119, v29 offset:98
	s_wait_dscnt 0x2
	v_add_f16_e32 v120, v123, v108
	v_fmamk_f16 v123, v107, 0x3a52, v113
	v_mul_f16_e32 v107, 0x3a52, v107
	v_sub_f16_e32 v51, v112, v125
	v_mul_f16_e32 v53, 0x2b26, v127
	v_add_f16_e32 v45, v45, v126
	v_sub_f16_e32 v54, v49, v50
	v_sub_f16_e64 v128, v52, v49
	v_add_f16_e32 v49, v49, v50
	v_mul_f16_e64 v129, 0xbb00, v118
	v_sub_f16_e32 v100, v101, v100
	v_sub_f16_e32 v50, v50, v52
	v_fmamk_f16 v114, v106, 0xb574, v84
	v_fmamk_f16 v127, v51, 0x3a52, v53
	;; [unrolled: 1-line block ×3, first 2 shown]
	v_mul_f16_e32 v54, 0x3846, v54
	v_add_f16_e32 v49, v52, v49
	v_sub_f16_e32 v101, v121, v112
	v_fma_f16 v52, v106, 0x3574, -v129
	v_fma_f16 v106, v100, 0xb9e0, -v107
	v_mul_f16_e32 v107, 0xbb00, v50
	v_add_f16_e32 v115, v122, v115
	v_fmamk_f16 v108, v108, 0xbcab, v120
	v_add_f16_e32 v122, v127, v126
	v_fma_f16 v127, 0xb574, v128, v54
	v_fma_f16 v107, v128, 0x3574, -v107
	v_fma_f16 v100, v100, 0x39e0, -v113
	;; [unrolled: 1-line block ×5, first 2 shown]
	v_mul_f16_e32 v51, 0x3a52, v51
	v_fmac_f16_e32 v127, 0xb70e, v49
	v_fmac_f16_e32 v52, 0xb70e, v115
	v_add_f16_e32 v106, v106, v108
	v_fmac_f16_e32 v107, 0xb70e, v49
	v_add_f16_e32 v54, v100, v108
	v_fmac_f16_e32 v84, 0xb70e, v115
	v_fmac_f16_e32 v50, 0xb70e, v49
	v_add_f16_e32 v49, v53, v126
	v_add_f16_e32 v123, v123, v108
	v_fma_f16 v51, v101, 0xb9e0, -v51
	v_add_f16_e32 v53, v52, v106
	v_sub_f16_e32 v101, v54, v84
	s_wait_loadcnt 0x3
	v_lshrrev_b32_e32 v108, 16, v12
	v_add_f16_e32 v113, v50, v49
	v_add_f16_e32 v54, v84, v54
	v_sub_f16_e32 v49, v49, v50
	v_sub_f16_e32 v50, v106, v52
	v_lshrrev_b32_e32 v84, 16, v13
	s_wait_loadcnt 0x2
	v_lshrrev_b32_e32 v106, 16, v26
	v_lshrrev_b32_e32 v121, 16, v25
	v_fmac_f16_e32 v114, 0xb70e, v115
	v_add_f16_e32 v51, v51, v126
	s_wait_dscnt 0x1
	v_mul_f16_e32 v52, v108, v105
	v_lshrrev_b32_e32 v115, 16, v15
	v_lshrrev_b32_e32 v118, 16, v14
	v_mul_f16_e32 v126, v106, v86
	v_mul_f16_e64 v130, v84, v99
	v_mul_f16_e64 v131, v121, v96
	v_fmac_f16_e32 v52, v39, v12
	v_mul_f16_e64 v128, v115, v97
	v_mul_f16_e64 v129, v118, v98
	v_fmac_f16_e32 v126, v44, v26
	v_fmac_f16_e64 v130, v40, v13
	v_fmac_f16_e64 v131, v43, v25
	v_mul_f16_e32 v44, v44, v106
	v_mul_f16_e32 v39, v39, v108
	;; [unrolled: 1-line block ×4, first 2 shown]
	v_fmac_f16_e64 v128, v42, v15
	v_fmac_f16_e64 v129, v41, v14
	v_fma_f16 v26, v26, v86, -v44
	v_fma_f16 v12, v12, v105, -v39
	v_mul_f16_e32 v39, v41, v118
	v_mul_f16_e32 v41, v42, v115
	v_fma_f16 v25, v25, v96, -v43
	v_fma_f16 v13, v13, v99, -v40
	v_sub_f16_e64 v132, v128, v129
	v_sub_f16_e64 v108, v130, v131
	v_fma_f16 v14, v14, v98, -v39
	v_fma_f16 v15, v15, v97, -v41
	v_add_f16_e32 v39, v12, v26
	v_add_f16_e32 v41, v13, v25
	;; [unrolled: 1-line block ×3, first 2 shown]
	v_sub_f16_e32 v100, v51, v107
	v_sub_f16_e32 v106, v52, v126
	v_add_f16_e32 v42, v107, v51
	v_add_f16_e32 v44, v15, v14
	;; [unrolled: 1-line block ×3, first 2 shown]
	v_sub_f16_e32 v84, v123, v114
	v_add_f16_e64 v98, v132, v108
	v_add_f16_e32 v52, v52, v126
	v_add_f16_e64 v105, v130, v131
	v_add_f16_e64 v114, v128, v129
	v_sub_f16_e64 v40, v132, v108
	v_sub_f16_e64 v43, v106, v132
	v_add_f16_e32 v51, v44, v51
	v_add_f16_e32 v98, v106, v98
	;; [unrolled: 1-line block ×3, first 2 shown]
	v_sub_f16_e32 v118, v114, v105
	v_sub_f16_e32 v14, v15, v14
	;; [unrolled: 1-line block ×5, first 2 shown]
	v_mul_f16_e32 v40, 0x3846, v40
	s_wait_dscnt 0x0
	v_add_f16_e32 v99, v119, v51
	v_add_f16_e32 v115, v114, v115
	v_sub_f16_e32 v114, v52, v114
	v_mul_f16_e32 v15, 0x2b26, v118
	v_sub_f16_e32 v26, v14, v13
	v_sub_f16_e32 v108, v12, v14
	v_add_f16_e32 v14, v14, v13
	v_mul_f16_e32 v119, 0xbb00, v106
	v_sub_f16_e32 v13, v13, v12
	v_sub_f16_e32 v96, v44, v41
	v_fmamk_f16 v97, v43, 0xb574, v40
	v_sub_f16_e32 v44, v39, v44
	v_fmamk_f16 v118, v114, 0x3a52, v15
	v_mul_f16_e32 v26, 0x3846, v26
	v_mul_f16_e32 v114, 0x3a52, v114
	v_add_f16_e32 v12, v12, v14
	v_fma_f16 v14, v43, 0x3574, -v119
	v_sub_f16_e32 v39, v41, v39
	v_sub_f16_e32 v41, v105, v52
	v_mul_f16_e32 v43, 0xbb00, v13
	v_fmamk_f16 v121, v108, 0xb574, v26
	v_fma_f16 v13, v13, 0xbb00, -v26
	s_wait_loadcnt 0x0
	v_lshrrev_b32_e32 v119, 16, v111
	v_fma_f16 v52, v41, 0xb9e0, -v114
	v_fma_f16 v43, v108, 0x3574, -v43
	;; [unrolled: 1-line block ×3, first 2 shown]
	v_lshrrev_b32_e32 v41, 16, v93
	v_lshrrev_b32_e32 v114, 16, v110
	v_sub_f16_e32 v112, v122, v127
	v_add_f16_e32 v86, v127, v122
	v_fmac_f16_e32 v121, 0xb70e, v12
	v_fma_f16 v40, v106, 0xbb00, -v40
	v_fmac_f16_e32 v43, 0xb70e, v12
	v_fmac_f16_e32 v13, 0xb70e, v12
	v_lshrrev_b32_e32 v12, 16, v92
	v_lshrrev_b32_e32 v105, 16, v95
	;; [unrolled: 1-line block ×3, first 2 shown]
	v_mul_f16_e32 v126, v41, v91
	v_mul_f16_e32 v127, v114, v87
	v_mul_f16_e64 v128, v119, v85
	v_mul_f16_e32 v108, v12, v90
	v_mul_f16_e32 v122, v105, v88
	;; [unrolled: 1-line block ×3, first 2 shown]
	v_fmac_f16_e32 v126, v32, v93
	v_fmac_f16_e32 v127, v36, v110
	v_fmac_f16_e64 v128, v37, v111
	v_mul_f16_e32 v37, v37, v119
	v_mul_f16_e32 v12, v33, v12
	;; [unrolled: 1-line block ×4, first 2 shown]
	ds_load_u16 v29, v29
	v_fmac_f16_e32 v122, v35, v95
	v_fmac_f16_e32 v123, v34, v94
	;; [unrolled: 1-line block ×3, first 2 shown]
	v_fma_f16 v33, v111, v85, -v37
	v_fma_f16 v12, v92, v90, -v12
	v_mul_f16_e32 v34, v34, v106
	v_mul_f16_e32 v35, v35, v105
	v_fma_f16 v36, v110, v87, -v36
	v_fma_f16 v32, v93, v91, -v32
	v_add_f16_e32 v41, v12, v33
	v_fma_f16 v34, v94, v89, -v34
	v_fma_f16 v35, v95, v88, -v35
	v_mul_f16_e32 v96, 0x2b26, v96
	v_add_f16_e32 v85, v32, v36
	v_fmamk_f16 v51, v51, 0xbcab, v99
	v_add_f16_e32 v25, v38, v115
	v_add_f16_e32 v87, v35, v34
	v_fmamk_f16 v107, v44, 0x3a52, v96
	v_add_f16_e32 v88, v41, v85
	v_mul_f16_e32 v44, 0x3a52, v44
	v_add_f16_e64 v92, v108, v128
	v_sub_f16_e32 v91, v87, v85
	v_add_f16_e32 v93, v126, v127
	v_add_f16_e32 v88, v87, v88
	v_fmac_f16_e32 v97, 0xb70e, v98
	v_add_f16_e32 v107, v107, v51
	v_fmamk_f16 v115, v115, 0xbcab, v25
	v_fma_f16 v44, v39, 0xb9e0, -v44
	s_wait_dscnt 0x0
	v_add_f16_e32 v94, v29, v88
	v_add_f16_e32 v29, v122, v123
	v_fma_f16 v39, v39, 0x39e0, -v96
	v_sub_f16_e32 v87, v41, v87
	v_mul_f16_e32 v91, 0x2b26, v91
	v_add_f16_e32 v95, v92, v93
	v_sub_f16_e32 v105, v29, v93
	v_add_f16_e32 v38, v97, v107
	v_add_f16_e32 v118, v118, v115
	;; [unrolled: 1-line block ×4, first 2 shown]
	v_fmac_f16_e32 v40, 0xb70e, v98
	v_add_f16_e32 v15, v15, v115
	v_sub_f16_e32 v115, v122, v123
	v_sub_f16_e64 v129, v126, v127
	v_sub_f16_e32 v89, v107, v97
	v_mul_f16_e32 v97, 0x3a52, v87
	v_fmamk_f16 v87, v87, 0x3a52, v91
	v_fmamk_f16 v88, v88, 0xbcab, v94
	v_add_f16_e32 v95, v29, v95
	v_sub_f16_e32 v34, v35, v34
	v_sub_f16_e32 v29, v92, v29
	v_mul_f16_e32 v35, 0x2b26, v105
	v_fmac_f16_e32 v14, 0xb70e, v98
	v_add_f16_e32 v44, v44, v51
	v_sub_f16_e32 v98, v39, v40
	v_add_f16_e64 v130, v13, v15
	v_add_f16_e32 v39, v40, v39
	v_sub_f16_e64 v40, v108, v128
	v_sub_f16_e32 v15, v15, v13
	v_sub_f16_e64 v13, v115, v129
	v_add_f16_e64 v37, v115, v129
	v_sub_f16_e32 v32, v32, v36
	v_add_f16_e32 v27, v27, v95
	v_sub_f16_e32 v12, v12, v33
	v_add_f16_e32 v36, v87, v88
	v_fmamk_f16 v87, v29, 0x3a52, v35
	v_mul_f16_e32 v29, 0x3a52, v29
	v_sub_f16_e32 v41, v85, v41
	v_sub_f16_e32 v85, v93, v92
	v_add_f16_e32 v51, v14, v44
	v_sub_f16_e32 v14, v44, v14
	v_sub_f16_e32 v44, v40, v115
	v_mul_f16_e32 v13, 0x3846, v13
	v_add_f16_e32 v37, v40, v37
	v_sub_f16_e32 v33, v34, v32
	v_fmamk_f16 v95, v95, 0xbcab, v27
	v_sub_f16_e32 v105, v12, v34
	v_sub_f16_e64 v40, v129, v40
	v_add_f16_e32 v34, v34, v32
	v_sub_f16_e32 v32, v32, v12
	v_fma_f16 v29, v85, 0xb9e0, -v29
	v_sub_f16_e32 v96, v52, v43
	v_add_f16_e32 v43, v43, v52
	v_fmamk_f16 v52, v44, 0xb574, v13
	v_mul_f16_e32 v33, 0x3846, v33
	v_mul_f16_e32 v92, 0xbb00, v32
	v_add_f16_e32 v93, v29, v95
	v_fma_f16 v29, v41, 0x39e0, -v91
	v_fma_f16 v13, v40, 0xbb00, -v13
	v_fmamk_f16 v107, v105, 0xb574, v33
	v_mul_f16_e32 v108, 0xbb00, v40
	v_add_f16_e32 v12, v12, v34
	v_fma_f16 v92, v105, 0x3574, -v92
	v_fma_f16 v32, v32, 0xbb00, -v33
	;; [unrolled: 1-line block ×3, first 2 shown]
	v_add_f16_e32 v29, v29, v88
	v_fmac_f16_e32 v13, 0xb70e, v37
	v_fma_f16 v34, v44, 0x3574, -v108
	v_fma_f16 v44, v41, 0xb9e0, -v97
	v_fmac_f16_e32 v107, 0xb70e, v12
	v_fmac_f16_e32 v92, 0xb70e, v12
	;; [unrolled: 1-line block ×3, first 2 shown]
	v_add_f16_e32 v12, v33, v95
	v_sub_f16_e32 v40, v29, v13
	v_add_f16_e32 v85, v13, v29
	v_mov_b32_e32 v29, v16
	v_fmac_f16_e32 v52, 0xb70e, v37
	v_add_f16_e32 v87, v87, v95
	v_fmac_f16_e32 v34, 0xb70e, v37
	v_add_f16_e32 v44, v44, v88
	v_add_f16_e32 v41, v32, v12
	v_sub_f16_e32 v32, v12, v32
	v_lshlrev_b64_e32 v[12:13], 2, v[28:29]
	v_add_co_u32 v28, vcc_lo, s8, v30
	s_wait_alu 0xfffd
	v_add_co_ci_u32_e32 v29, vcc_lo, s9, v31, vcc_lo
	v_add_f16_e32 v106, v52, v36
	v_add_f16_e32 v35, v34, v44
	v_sub_f16_e32 v37, v93, v92
	v_sub_f16_e32 v36, v36, v52
	v_add_f16_e32 v30, v107, v87
	v_sub_f16_e32 v34, v44, v34
	v_add_f16_e32 v44, v92, v93
	v_add_co_u32 v12, vcc_lo, v28, v12
	s_wait_alu 0xfffd
	v_add_co_ci_u32_e32 v13, vcc_lo, v29, v13, vcc_lo
	v_pack_b32_f16 v27, v27, v94
	v_sub_f16_e32 v26, v118, v121
	v_pack_b32_f16 v25, v25, v99
	v_pack_b32_f16 v28, v30, v36
	;; [unrolled: 1-line block ×7, first 2 shown]
	v_mul_hi_u32 v39, 0xbf112a8b, v46
	v_pack_b32_f16 v14, v43, v14
	s_clause 0x2
	global_store_b32 v[12:13], v27, off
	global_store_b32 v[12:13], v25, off offset:196
	global_store_b32 v[12:13], v37, off offset:392
	v_pack_b32_f16 v25, v42, v50
	v_pack_b32_f16 v31, v41, v40
	;; [unrolled: 1-line block ×4, first 2 shown]
	v_add_f16_e32 v90, v121, v118
	v_pack_b32_f16 v15, v130, v98
	s_clause 0x2
	global_store_b32 v[12:13], v29, off offset:2744
	global_store_b32 v[12:13], v14, off offset:2940
	;; [unrolled: 1-line block ×3, first 2 shown]
	v_pack_b32_f16 v25, v113, v101
	s_clause 0x3
	global_store_b32 v[12:13], v31, off offset:5488
	global_store_b32 v[12:13], v15, off offset:5684
	;; [unrolled: 1-line block ×4, first 2 shown]
	v_lshrrev_b32_e32 v26, 8, v39
	v_pack_b32_f16 v34, v90, v89
	v_pack_b32_f16 v27, v86, v84
	;; [unrolled: 1-line block ×5, first 2 shown]
	s_clause 0x4
	global_store_b32 v[12:13], v28, off offset:1372
	global_store_b32 v[12:13], v34, off offset:1568
	;; [unrolled: 1-line block ×5, first 2 shown]
	v_mul_u32_u24_e32 v15, 0x80a, v26
	v_pack_b32_f16 v27, v102, v104
	v_pack_b32_f16 v29, v117, v116
	s_clause 0x4
	global_store_b32 v[12:13], v30, off offset:4116
	global_store_b32 v[12:13], v35, off offset:4312
	;; [unrolled: 1-line block ×5, first 2 shown]
	v_mul_hi_u32 v27, 0xbf112a8b, v47
	v_lshlrev_b64_e32 v[14:15], 2, v[15:16]
	v_pack_b32_f16 v36, v96, v51
	v_pack_b32_f16 v25, v100, v53
	v_pack_b32_f16 v26, v81, v60
	v_sub_f16_e32 v33, v87, v107
	s_clause 0x3
	global_store_b32 v[12:13], v32, off offset:6860
	global_store_b32 v[12:13], v36, off offset:7056
	;; [unrolled: 1-line block ×4, first 2 shown]
	v_add_co_u32 v25, vcc_lo, v12, v14
	v_lshrrev_b32_e32 v14, 8, v27
	v_pack_b32_f16 v33, v33, v106
	s_wait_alu 0xfffd
	v_add_co_ci_u32_e32 v26, vcc_lo, v13, v15, vcc_lo
	v_mul_hi_u32 v32, 0xbf112a8b, v48
	v_mul_u32_u24_e32 v15, 0x80a, v14
	v_pack_b32_f16 v31, v112, v125
	v_pack_b32_f16 v28, v58, v55
	;; [unrolled: 1-line block ×3, first 2 shown]
	s_clause 0x3
	global_store_b32 v[12:13], v33, off offset:8232
	global_store_b32 v[12:13], v38, off offset:8428
	;; [unrolled: 1-line block ×4, first 2 shown]
	v_pack_b32_f16 v28, v57, v56
	v_pack_b32_f16 v30, v61, v80
	v_lshlrev_b64_e32 v[14:15], 2, v[15:16]
	v_pack_b32_f16 v17, v18, v17
	v_pack_b32_f16 v18, v78, v77
	;; [unrolled: 1-line block ×4, first 2 shown]
	s_clause 0x6
	global_store_b32 v[25:26], v27, off offset:784
	global_store_b32 v[25:26], v28, off offset:2156
	;; [unrolled: 1-line block ×7, first 2 shown]
	v_lshrrev_b32_e32 v25, 8, v32
	v_add_co_u32 v17, vcc_lo, v12, v14
	s_wait_alu 0xfffd
	v_add_co_ci_u32_e32 v18, vcc_lo, v13, v15, vcc_lo
	s_delay_alu instid0(VALU_DEP_3)
	v_mul_u32_u24_e32 v15, 0x80a, v25
	v_pack_b32_f16 v14, v3, v2
	v_pack_b32_f16 v0, v1, v0
	;; [unrolled: 1-line block ×4, first 2 shown]
	v_lshlrev_b64_e32 v[2:3], 2, v[15:16]
	v_pack_b32_f16 v27, v69, v68
	v_pack_b32_f16 v25, v67, v66
	;; [unrolled: 1-line block ×5, first 2 shown]
	v_add_co_u32 v2, vcc_lo, v12, v2
	s_wait_alu 0xfffd
	v_add_co_ci_u32_e32 v3, vcc_lo, v13, v3, vcc_lo
	v_pack_b32_f16 v12, v20, v19
	v_pack_b32_f16 v29, v63, v62
	;; [unrolled: 1-line block ×3, first 2 shown]
	s_clause 0x6
	global_store_b32 v[17:18], v14, off offset:980
	global_store_b32 v[17:18], v26, off offset:2352
	;; [unrolled: 1-line block ×7, first 2 shown]
	v_pack_b32_f16 v6, v7, v6
	v_pack_b32_f16 v4, v5, v4
	s_clause 0x6
	global_store_b32 v[2:3], v0, off offset:1176
	global_store_b32 v[2:3], v1, off offset:2548
	;; [unrolled: 1-line block ×7, first 2 shown]
.LBB0_13:
	s_nop 0
	s_sendmsg sendmsg(MSG_DEALLOC_VGPRS)
	s_endpgm
	.section	.rodata,"a",@progbits
	.p2align	6, 0x0
	.amdhsa_kernel fft_rtc_back_len2401_factors_7_7_7_7_wgs_49_tpt_49_halfLds_half_ip_CI_unitstride_sbrr_dirReg
		.amdhsa_group_segment_fixed_size 0
		.amdhsa_private_segment_fixed_size 0
		.amdhsa_kernarg_size 88
		.amdhsa_user_sgpr_count 2
		.amdhsa_user_sgpr_dispatch_ptr 0
		.amdhsa_user_sgpr_queue_ptr 0
		.amdhsa_user_sgpr_kernarg_segment_ptr 1
		.amdhsa_user_sgpr_dispatch_id 0
		.amdhsa_user_sgpr_private_segment_size 0
		.amdhsa_wavefront_size32 1
		.amdhsa_uses_dynamic_stack 0
		.amdhsa_enable_private_segment 0
		.amdhsa_system_sgpr_workgroup_id_x 1
		.amdhsa_system_sgpr_workgroup_id_y 0
		.amdhsa_system_sgpr_workgroup_id_z 0
		.amdhsa_system_sgpr_workgroup_info 0
		.amdhsa_system_vgpr_workitem_id 0
		.amdhsa_next_free_vgpr 165
		.amdhsa_next_free_sgpr 32
		.amdhsa_reserve_vcc 1
		.amdhsa_float_round_mode_32 0
		.amdhsa_float_round_mode_16_64 0
		.amdhsa_float_denorm_mode_32 3
		.amdhsa_float_denorm_mode_16_64 3
		.amdhsa_fp16_overflow 0
		.amdhsa_workgroup_processor_mode 1
		.amdhsa_memory_ordered 1
		.amdhsa_forward_progress 0
		.amdhsa_round_robin_scheduling 0
		.amdhsa_exception_fp_ieee_invalid_op 0
		.amdhsa_exception_fp_denorm_src 0
		.amdhsa_exception_fp_ieee_div_zero 0
		.amdhsa_exception_fp_ieee_overflow 0
		.amdhsa_exception_fp_ieee_underflow 0
		.amdhsa_exception_fp_ieee_inexact 0
		.amdhsa_exception_int_div_zero 0
	.end_amdhsa_kernel
	.text
.Lfunc_end0:
	.size	fft_rtc_back_len2401_factors_7_7_7_7_wgs_49_tpt_49_halfLds_half_ip_CI_unitstride_sbrr_dirReg, .Lfunc_end0-fft_rtc_back_len2401_factors_7_7_7_7_wgs_49_tpt_49_halfLds_half_ip_CI_unitstride_sbrr_dirReg
                                        ; -- End function
	.section	.AMDGPU.csdata,"",@progbits
; Kernel info:
; codeLenInByte = 28804
; NumSgprs: 34
; NumVgprs: 165
; ScratchSize: 0
; MemoryBound: 0
; FloatMode: 240
; IeeeMode: 1
; LDSByteSize: 0 bytes/workgroup (compile time only)
; SGPRBlocks: 4
; VGPRBlocks: 20
; NumSGPRsForWavesPerEU: 34
; NumVGPRsForWavesPerEU: 165
; Occupancy: 9
; WaveLimiterHint : 1
; COMPUTE_PGM_RSRC2:SCRATCH_EN: 0
; COMPUTE_PGM_RSRC2:USER_SGPR: 2
; COMPUTE_PGM_RSRC2:TRAP_HANDLER: 0
; COMPUTE_PGM_RSRC2:TGID_X_EN: 1
; COMPUTE_PGM_RSRC2:TGID_Y_EN: 0
; COMPUTE_PGM_RSRC2:TGID_Z_EN: 0
; COMPUTE_PGM_RSRC2:TIDIG_COMP_CNT: 0
	.text
	.p2alignl 7, 3214868480
	.fill 96, 4, 3214868480
	.type	__hip_cuid_a3da41d810c55aeb,@object ; @__hip_cuid_a3da41d810c55aeb
	.section	.bss,"aw",@nobits
	.globl	__hip_cuid_a3da41d810c55aeb
__hip_cuid_a3da41d810c55aeb:
	.byte	0                               ; 0x0
	.size	__hip_cuid_a3da41d810c55aeb, 1

	.ident	"AMD clang version 19.0.0git (https://github.com/RadeonOpenCompute/llvm-project roc-6.4.0 25133 c7fe45cf4b819c5991fe208aaa96edf142730f1d)"
	.section	".note.GNU-stack","",@progbits
	.addrsig
	.addrsig_sym __hip_cuid_a3da41d810c55aeb
	.amdgpu_metadata
---
amdhsa.kernels:
  - .args:
      - .actual_access:  read_only
        .address_space:  global
        .offset:         0
        .size:           8
        .value_kind:     global_buffer
      - .offset:         8
        .size:           8
        .value_kind:     by_value
      - .actual_access:  read_only
        .address_space:  global
        .offset:         16
        .size:           8
        .value_kind:     global_buffer
      - .actual_access:  read_only
        .address_space:  global
        .offset:         24
        .size:           8
        .value_kind:     global_buffer
      - .offset:         32
        .size:           8
        .value_kind:     by_value
      - .actual_access:  read_only
        .address_space:  global
        .offset:         40
        .size:           8
        .value_kind:     global_buffer
      - .actual_access:  read_only
        .address_space:  global
        .offset:         48
        .size:           8
        .value_kind:     global_buffer
      - .offset:         56
        .size:           4
        .value_kind:     by_value
      - .actual_access:  read_only
        .address_space:  global
        .offset:         64
        .size:           8
        .value_kind:     global_buffer
      - .actual_access:  read_only
        .address_space:  global
        .offset:         72
        .size:           8
        .value_kind:     global_buffer
      - .address_space:  global
        .offset:         80
        .size:           8
        .value_kind:     global_buffer
    .group_segment_fixed_size: 0
    .kernarg_segment_align: 8
    .kernarg_segment_size: 88
    .language:       OpenCL C
    .language_version:
      - 2
      - 0
    .max_flat_workgroup_size: 49
    .name:           fft_rtc_back_len2401_factors_7_7_7_7_wgs_49_tpt_49_halfLds_half_ip_CI_unitstride_sbrr_dirReg
    .private_segment_fixed_size: 0
    .sgpr_count:     34
    .sgpr_spill_count: 0
    .symbol:         fft_rtc_back_len2401_factors_7_7_7_7_wgs_49_tpt_49_halfLds_half_ip_CI_unitstride_sbrr_dirReg.kd
    .uniform_work_group_size: 1
    .uses_dynamic_stack: false
    .vgpr_count:     165
    .vgpr_spill_count: 0
    .wavefront_size: 32
    .workgroup_processor_mode: 1
amdhsa.target:   amdgcn-amd-amdhsa--gfx1201
amdhsa.version:
  - 1
  - 2
...

	.end_amdgpu_metadata
